;; amdgpu-corpus repo=ROCm/rocFFT kind=compiled arch=gfx1100 opt=O3
	.text
	.amdgcn_target "amdgcn-amd-amdhsa--gfx1100"
	.amdhsa_code_object_version 6
	.protected	fft_rtc_fwd_len442_factors_17_2_13_wgs_238_tpt_34_halfLds_dp_op_CI_CI_unitstride_sbrr_C2R_dirReg ; -- Begin function fft_rtc_fwd_len442_factors_17_2_13_wgs_238_tpt_34_halfLds_dp_op_CI_CI_unitstride_sbrr_C2R_dirReg
	.globl	fft_rtc_fwd_len442_factors_17_2_13_wgs_238_tpt_34_halfLds_dp_op_CI_CI_unitstride_sbrr_C2R_dirReg
	.p2align	8
	.type	fft_rtc_fwd_len442_factors_17_2_13_wgs_238_tpt_34_halfLds_dp_op_CI_CI_unitstride_sbrr_C2R_dirReg,@function
fft_rtc_fwd_len442_factors_17_2_13_wgs_238_tpt_34_halfLds_dp_op_CI_CI_unitstride_sbrr_C2R_dirReg: ; @fft_rtc_fwd_len442_factors_17_2_13_wgs_238_tpt_34_halfLds_dp_op_CI_CI_unitstride_sbrr_C2R_dirReg
; %bb.0:
	s_load_b128 s[8:11], s[0:1], 0x0
	v_mul_u32_u24_e32 v1, 0x788, v0
	s_clause 0x1
	s_load_b128 s[4:7], s[0:1], 0x58
	s_load_b128 s[16:19], s[0:1], 0x18
	v_mov_b32_e32 v5, 0
	v_lshrrev_b32_e32 v6, 16, v1
	v_mov_b32_e32 v1, 0
	v_mov_b32_e32 v2, 0
	s_delay_alu instid0(VALU_DEP_3) | instskip(NEXT) | instid1(VALU_DEP_2)
	v_mad_u64_u32 v[3:4], null, s15, 7, v[6:7]
	v_dual_mov_b32 v4, v5 :: v_dual_mov_b32 v77, v2
	s_delay_alu instid0(VALU_DEP_1) | instskip(NEXT) | instid1(VALU_DEP_3)
	v_dual_mov_b32 v76, v1 :: v_dual_mov_b32 v81, v4
	v_mov_b32_e32 v80, v3
	s_waitcnt lgkmcnt(0)
	v_cmp_lt_u64_e64 s2, s[10:11], 2
	s_delay_alu instid0(VALU_DEP_1)
	s_and_b32 vcc_lo, exec_lo, s2
	s_cbranch_vccnz .LBB0_8
; %bb.1:
	s_load_b64 s[2:3], s[0:1], 0x10
	v_dual_mov_b32 v1, 0 :: v_dual_mov_b32 v8, v4
	v_dual_mov_b32 v2, 0 :: v_dual_mov_b32 v7, v3
	s_add_u32 s12, s18, 8
	s_addc_u32 s13, s19, 0
	s_add_u32 s14, s16, 8
	s_delay_alu instid0(VALU_DEP_1)
	v_dual_mov_b32 v77, v2 :: v_dual_mov_b32 v76, v1
	s_addc_u32 s15, s17, 0
	s_mov_b64 s[22:23], 1
	s_waitcnt lgkmcnt(0)
	s_add_u32 s20, s2, 8
	s_addc_u32 s21, s3, 0
.LBB0_2:                                ; =>This Inner Loop Header: Depth=1
	s_load_b64 s[24:25], s[20:21], 0x0
                                        ; implicit-def: $vgpr80_vgpr81
	s_mov_b32 s2, exec_lo
	s_waitcnt lgkmcnt(0)
	v_or_b32_e32 v6, s25, v8
	s_delay_alu instid0(VALU_DEP_1)
	v_cmpx_ne_u64_e32 0, v[5:6]
	s_xor_b32 s3, exec_lo, s2
	s_cbranch_execz .LBB0_4
; %bb.3:                                ;   in Loop: Header=BB0_2 Depth=1
	v_cvt_f32_u32_e32 v4, s24
	v_cvt_f32_u32_e32 v6, s25
	s_sub_u32 s2, 0, s24
	s_subb_u32 s26, 0, s25
	s_delay_alu instid0(VALU_DEP_1) | instskip(NEXT) | instid1(VALU_DEP_1)
	v_fmac_f32_e32 v4, 0x4f800000, v6
	v_rcp_f32_e32 v4, v4
	s_waitcnt_depctr 0xfff
	v_mul_f32_e32 v4, 0x5f7ffffc, v4
	s_delay_alu instid0(VALU_DEP_1) | instskip(NEXT) | instid1(VALU_DEP_1)
	v_mul_f32_e32 v6, 0x2f800000, v4
	v_trunc_f32_e32 v6, v6
	s_delay_alu instid0(VALU_DEP_1) | instskip(SKIP_1) | instid1(VALU_DEP_2)
	v_fmac_f32_e32 v4, 0xcf800000, v6
	v_cvt_u32_f32_e32 v6, v6
	v_cvt_u32_f32_e32 v4, v4
	s_delay_alu instid0(VALU_DEP_2) | instskip(NEXT) | instid1(VALU_DEP_2)
	v_mul_lo_u32 v9, s2, v6
	v_mul_hi_u32 v10, s2, v4
	v_mul_lo_u32 v11, s26, v4
	s_delay_alu instid0(VALU_DEP_2) | instskip(SKIP_1) | instid1(VALU_DEP_2)
	v_add_nc_u32_e32 v9, v10, v9
	v_mul_lo_u32 v10, s2, v4
	v_add_nc_u32_e32 v9, v9, v11
	s_delay_alu instid0(VALU_DEP_2) | instskip(NEXT) | instid1(VALU_DEP_2)
	v_mul_hi_u32 v11, v4, v10
	v_mul_lo_u32 v12, v4, v9
	v_mul_hi_u32 v13, v4, v9
	v_mul_hi_u32 v14, v6, v10
	v_mul_lo_u32 v10, v6, v10
	v_mul_hi_u32 v15, v6, v9
	v_mul_lo_u32 v9, v6, v9
	v_add_co_u32 v11, vcc_lo, v11, v12
	v_add_co_ci_u32_e32 v12, vcc_lo, 0, v13, vcc_lo
	s_delay_alu instid0(VALU_DEP_2) | instskip(NEXT) | instid1(VALU_DEP_2)
	v_add_co_u32 v10, vcc_lo, v11, v10
	v_add_co_ci_u32_e32 v10, vcc_lo, v12, v14, vcc_lo
	v_add_co_ci_u32_e32 v11, vcc_lo, 0, v15, vcc_lo
	s_delay_alu instid0(VALU_DEP_2) | instskip(NEXT) | instid1(VALU_DEP_2)
	v_add_co_u32 v9, vcc_lo, v10, v9
	v_add_co_ci_u32_e32 v10, vcc_lo, 0, v11, vcc_lo
	s_delay_alu instid0(VALU_DEP_2) | instskip(NEXT) | instid1(VALU_DEP_2)
	v_add_co_u32 v4, vcc_lo, v4, v9
	v_add_co_ci_u32_e32 v6, vcc_lo, v6, v10, vcc_lo
	s_delay_alu instid0(VALU_DEP_2) | instskip(SKIP_1) | instid1(VALU_DEP_3)
	v_mul_hi_u32 v9, s2, v4
	v_mul_lo_u32 v11, s26, v4
	v_mul_lo_u32 v10, s2, v6
	s_delay_alu instid0(VALU_DEP_1) | instskip(SKIP_1) | instid1(VALU_DEP_2)
	v_add_nc_u32_e32 v9, v9, v10
	v_mul_lo_u32 v10, s2, v4
	v_add_nc_u32_e32 v9, v9, v11
	s_delay_alu instid0(VALU_DEP_2) | instskip(NEXT) | instid1(VALU_DEP_2)
	v_mul_hi_u32 v11, v4, v10
	v_mul_lo_u32 v12, v4, v9
	v_mul_hi_u32 v13, v4, v9
	v_mul_hi_u32 v14, v6, v10
	v_mul_lo_u32 v10, v6, v10
	v_mul_hi_u32 v15, v6, v9
	v_mul_lo_u32 v9, v6, v9
	v_add_co_u32 v11, vcc_lo, v11, v12
	v_add_co_ci_u32_e32 v12, vcc_lo, 0, v13, vcc_lo
	s_delay_alu instid0(VALU_DEP_2) | instskip(NEXT) | instid1(VALU_DEP_2)
	v_add_co_u32 v10, vcc_lo, v11, v10
	v_add_co_ci_u32_e32 v10, vcc_lo, v12, v14, vcc_lo
	v_add_co_ci_u32_e32 v11, vcc_lo, 0, v15, vcc_lo
	s_delay_alu instid0(VALU_DEP_2) | instskip(NEXT) | instid1(VALU_DEP_2)
	v_add_co_u32 v9, vcc_lo, v10, v9
	v_add_co_ci_u32_e32 v10, vcc_lo, 0, v11, vcc_lo
	s_delay_alu instid0(VALU_DEP_2) | instskip(NEXT) | instid1(VALU_DEP_2)
	v_add_co_u32 v4, vcc_lo, v4, v9
	v_add_co_ci_u32_e32 v6, vcc_lo, v6, v10, vcc_lo
	s_delay_alu instid0(VALU_DEP_2) | instskip(SKIP_1) | instid1(VALU_DEP_3)
	v_mul_hi_u32 v15, v7, v4
	v_mad_u64_u32 v[11:12], null, v8, v4, 0
	v_mad_u64_u32 v[9:10], null, v7, v6, 0
	;; [unrolled: 1-line block ×3, first 2 shown]
	s_delay_alu instid0(VALU_DEP_2) | instskip(NEXT) | instid1(VALU_DEP_3)
	v_add_co_u32 v4, vcc_lo, v15, v9
	v_add_co_ci_u32_e32 v6, vcc_lo, 0, v10, vcc_lo
	s_delay_alu instid0(VALU_DEP_2) | instskip(NEXT) | instid1(VALU_DEP_2)
	v_add_co_u32 v4, vcc_lo, v4, v11
	v_add_co_ci_u32_e32 v4, vcc_lo, v6, v12, vcc_lo
	v_add_co_ci_u32_e32 v6, vcc_lo, 0, v14, vcc_lo
	s_delay_alu instid0(VALU_DEP_2) | instskip(NEXT) | instid1(VALU_DEP_2)
	v_add_co_u32 v4, vcc_lo, v4, v13
	v_add_co_ci_u32_e32 v6, vcc_lo, 0, v6, vcc_lo
	s_delay_alu instid0(VALU_DEP_2) | instskip(SKIP_1) | instid1(VALU_DEP_3)
	v_mul_lo_u32 v11, s25, v4
	v_mad_u64_u32 v[9:10], null, s24, v4, 0
	v_mul_lo_u32 v12, s24, v6
	s_delay_alu instid0(VALU_DEP_2) | instskip(NEXT) | instid1(VALU_DEP_2)
	v_sub_co_u32 v9, vcc_lo, v7, v9
	v_add3_u32 v10, v10, v12, v11
	s_delay_alu instid0(VALU_DEP_1) | instskip(NEXT) | instid1(VALU_DEP_1)
	v_sub_nc_u32_e32 v11, v8, v10
	v_subrev_co_ci_u32_e64 v11, s2, s25, v11, vcc_lo
	v_add_co_u32 v12, s2, v4, 2
	s_delay_alu instid0(VALU_DEP_1) | instskip(SKIP_3) | instid1(VALU_DEP_3)
	v_add_co_ci_u32_e64 v13, s2, 0, v6, s2
	v_sub_co_u32 v14, s2, v9, s24
	v_sub_co_ci_u32_e32 v10, vcc_lo, v8, v10, vcc_lo
	v_subrev_co_ci_u32_e64 v11, s2, 0, v11, s2
	v_cmp_le_u32_e32 vcc_lo, s24, v14
	s_delay_alu instid0(VALU_DEP_3) | instskip(SKIP_1) | instid1(VALU_DEP_4)
	v_cmp_eq_u32_e64 s2, s25, v10
	v_cndmask_b32_e64 v14, 0, -1, vcc_lo
	v_cmp_le_u32_e32 vcc_lo, s25, v11
	v_cndmask_b32_e64 v15, 0, -1, vcc_lo
	v_cmp_le_u32_e32 vcc_lo, s24, v9
	;; [unrolled: 2-line block ×3, first 2 shown]
	v_cndmask_b32_e64 v16, 0, -1, vcc_lo
	v_cmp_eq_u32_e32 vcc_lo, s25, v11
	s_delay_alu instid0(VALU_DEP_2) | instskip(SKIP_3) | instid1(VALU_DEP_3)
	v_cndmask_b32_e64 v9, v16, v9, s2
	v_cndmask_b32_e32 v11, v15, v14, vcc_lo
	v_add_co_u32 v14, vcc_lo, v4, 1
	v_add_co_ci_u32_e32 v15, vcc_lo, 0, v6, vcc_lo
	v_cmp_ne_u32_e32 vcc_lo, 0, v11
	s_delay_alu instid0(VALU_DEP_2) | instskip(SKIP_1) | instid1(VALU_DEP_2)
	v_dual_cndmask_b32 v10, v15, v13 :: v_dual_cndmask_b32 v11, v14, v12
	v_cmp_ne_u32_e32 vcc_lo, 0, v9
	v_dual_cndmask_b32 v81, v6, v10 :: v_dual_cndmask_b32 v80, v4, v11
.LBB0_4:                                ;   in Loop: Header=BB0_2 Depth=1
	s_and_not1_saveexec_b32 s2, s3
	s_cbranch_execz .LBB0_6
; %bb.5:                                ;   in Loop: Header=BB0_2 Depth=1
	v_cvt_f32_u32_e32 v4, s24
	s_sub_i32 s3, 0, s24
	v_mov_b32_e32 v81, v5
	s_delay_alu instid0(VALU_DEP_2) | instskip(SKIP_2) | instid1(VALU_DEP_1)
	v_rcp_iflag_f32_e32 v4, v4
	s_waitcnt_depctr 0xfff
	v_mul_f32_e32 v4, 0x4f7ffffe, v4
	v_cvt_u32_f32_e32 v4, v4
	s_delay_alu instid0(VALU_DEP_1) | instskip(NEXT) | instid1(VALU_DEP_1)
	v_mul_lo_u32 v6, s3, v4
	v_mul_hi_u32 v6, v4, v6
	s_delay_alu instid0(VALU_DEP_1) | instskip(NEXT) | instid1(VALU_DEP_1)
	v_add_nc_u32_e32 v4, v4, v6
	v_mul_hi_u32 v4, v7, v4
	s_delay_alu instid0(VALU_DEP_1) | instskip(NEXT) | instid1(VALU_DEP_1)
	v_mul_lo_u32 v6, v4, s24
	v_sub_nc_u32_e32 v6, v7, v6
	s_delay_alu instid0(VALU_DEP_1) | instskip(SKIP_1) | instid1(VALU_DEP_2)
	v_subrev_nc_u32_e32 v10, s24, v6
	v_cmp_le_u32_e32 vcc_lo, s24, v6
	v_dual_cndmask_b32 v6, v6, v10 :: v_dual_add_nc_u32 v9, 1, v4
	s_delay_alu instid0(VALU_DEP_1) | instskip(NEXT) | instid1(VALU_DEP_2)
	v_cndmask_b32_e32 v4, v4, v9, vcc_lo
	v_cmp_le_u32_e32 vcc_lo, s24, v6
	s_delay_alu instid0(VALU_DEP_2) | instskip(NEXT) | instid1(VALU_DEP_1)
	v_add_nc_u32_e32 v9, 1, v4
	v_cndmask_b32_e32 v80, v4, v9, vcc_lo
.LBB0_6:                                ;   in Loop: Header=BB0_2 Depth=1
	s_or_b32 exec_lo, exec_lo, s2
	s_delay_alu instid0(VALU_DEP_1) | instskip(NEXT) | instid1(VALU_DEP_2)
	v_mul_lo_u32 v4, v81, s24
	v_mul_lo_u32 v6, v80, s25
	s_load_b64 s[2:3], s[14:15], 0x0
	v_mad_u64_u32 v[9:10], null, v80, s24, 0
	s_load_b64 s[24:25], s[12:13], 0x0
	s_add_u32 s22, s22, 1
	s_addc_u32 s23, s23, 0
	s_add_u32 s12, s12, 8
	s_addc_u32 s13, s13, 0
	s_add_u32 s14, s14, 8
	s_delay_alu instid0(VALU_DEP_1) | instskip(SKIP_3) | instid1(VALU_DEP_2)
	v_add3_u32 v4, v10, v6, v4
	v_sub_co_u32 v10, vcc_lo, v7, v9
	s_addc_u32 s15, s15, 0
	s_add_u32 s20, s20, 8
	v_sub_co_ci_u32_e32 v4, vcc_lo, v8, v4, vcc_lo
	s_addc_u32 s21, s21, 0
	s_waitcnt lgkmcnt(0)
	s_delay_alu instid0(VALU_DEP_1)
	v_mul_lo_u32 v11, s2, v4
	v_mul_lo_u32 v12, s3, v10
	v_mad_u64_u32 v[6:7], null, s2, v10, v[1:2]
	v_mul_lo_u32 v4, s24, v4
	v_mul_lo_u32 v13, s25, v10
	v_mad_u64_u32 v[8:9], null, s24, v10, v[76:77]
	v_cmp_ge_u64_e64 s2, s[22:23], s[10:11]
	v_add3_u32 v2, v12, v7, v11
	s_delay_alu instid0(VALU_DEP_3) | instskip(NEXT) | instid1(VALU_DEP_4)
	v_dual_mov_b32 v1, v6 :: v_dual_mov_b32 v76, v8
	v_add3_u32 v77, v13, v9, v4
	s_delay_alu instid0(VALU_DEP_4)
	s_and_b32 vcc_lo, exec_lo, s2
	s_cbranch_vccnz .LBB0_8
; %bb.7:                                ;   in Loop: Header=BB0_2 Depth=1
	v_dual_mov_b32 v7, v80 :: v_dual_mov_b32 v8, v81
	s_branch .LBB0_2
.LBB0_8:
	v_mul_hi_u32 v4, 0x24924925, v3
	s_load_b64 s[0:1], s[0:1], 0x28
	s_lshl_b64 s[10:11], s[10:11], 3
                                        ; implicit-def: $vgpr78
	s_delay_alu instid0(SALU_CYCLE_1) | instskip(SKIP_1) | instid1(VALU_DEP_1)
	s_add_u32 s2, s18, s10
	s_addc_u32 s3, s19, s11
	v_sub_nc_u32_e32 v5, v3, v4
	s_delay_alu instid0(VALU_DEP_1) | instskip(NEXT) | instid1(VALU_DEP_1)
	v_lshrrev_b32_e32 v5, 1, v5
	v_add_nc_u32_e32 v4, v5, v4
	s_waitcnt lgkmcnt(0)
	v_cmp_gt_u64_e32 vcc_lo, s[0:1], v[80:81]
	v_cmp_le_u64_e64 s0, s[0:1], v[80:81]
	s_delay_alu instid0(VALU_DEP_3) | instskip(NEXT) | instid1(VALU_DEP_1)
	v_lshrrev_b32_e32 v4, 2, v4
	v_mul_lo_u32 v5, v4, 7
	v_mul_hi_u32 v4, 0x7878788, v0
	s_delay_alu instid0(VALU_DEP_2) | instskip(SKIP_1) | instid1(SALU_CYCLE_1)
	v_sub_nc_u32_e32 v3, v3, v5
	s_and_saveexec_b32 s1, s0
	s_xor_b32 s0, exec_lo, s1
; %bb.9:
	s_delay_alu instid0(VALU_DEP_2) | instskip(NEXT) | instid1(VALU_DEP_1)
	v_mul_u32_u24_e32 v1, 34, v4
                                        ; implicit-def: $vgpr4
	v_sub_nc_u32_e32 v78, v0, v1
                                        ; implicit-def: $vgpr0
                                        ; implicit-def: $vgpr1_vgpr2
; %bb.10:
	s_or_saveexec_b32 s1, s0
	s_load_b64 s[2:3], s[2:3], 0x0
	v_mul_u32_u24_e32 v3, 0x1bb, v3
	s_delay_alu instid0(VALU_DEP_1)
	v_lshlrev_b32_e32 v212, 4, v3
	s_xor_b32 exec_lo, exec_lo, s1
	s_cbranch_execz .LBB0_14
; %bb.11:
	s_add_u32 s10, s16, s10
	s_addc_u32 s11, s17, s11
	v_lshlrev_b64 v[1:2], 4, v[1:2]
	s_load_b64 s[10:11], s[10:11], 0x0
	s_waitcnt lgkmcnt(0)
	v_mul_lo_u32 v7, s11, v80
	v_mul_lo_u32 v8, s10, v81
	v_mad_u64_u32 v[5:6], null, s10, v80, 0
	s_delay_alu instid0(VALU_DEP_1) | instskip(SKIP_1) | instid1(VALU_DEP_2)
	v_add3_u32 v6, v6, v8, v7
	v_mul_u32_u24_e32 v7, 34, v4
	v_lshlrev_b64 v[4:5], 4, v[5:6]
	s_delay_alu instid0(VALU_DEP_2) | instskip(NEXT) | instid1(VALU_DEP_1)
	v_sub_nc_u32_e32 v78, v0, v7
	v_lshlrev_b32_e32 v56, 4, v78
	s_delay_alu instid0(VALU_DEP_3) | instskip(NEXT) | instid1(VALU_DEP_1)
	v_add_co_u32 v0, s0, s4, v4
	v_add_co_ci_u32_e64 v4, s0, s5, v5, s0
	s_mov_b32 s4, exec_lo
	s_delay_alu instid0(VALU_DEP_2) | instskip(NEXT) | instid1(VALU_DEP_1)
	v_add_co_u32 v0, s0, v0, v1
	v_add_co_ci_u32_e64 v1, s0, v4, v2, s0
	v_add3_u32 v2, 0, v212, v56
	s_delay_alu instid0(VALU_DEP_3) | instskip(NEXT) | instid1(VALU_DEP_1)
	v_add_co_u32 v32, s0, v0, v56
	v_add_co_ci_u32_e64 v33, s0, 0, v1, s0
	s_clause 0x3
	global_load_b128 v[4:7], v[32:33], off
	global_load_b128 v[8:11], v[32:33], off offset:544
	global_load_b128 v[12:15], v[32:33], off offset:1088
	;; [unrolled: 1-line block ×3, first 2 shown]
	v_add_co_u32 v52, s0, 0x1000, v32
	s_delay_alu instid0(VALU_DEP_1)
	v_add_co_ci_u32_e64 v53, s0, 0, v33, s0
	s_clause 0x8
	global_load_b128 v[20:23], v[32:33], off offset:2176
	global_load_b128 v[24:27], v[32:33], off offset:2720
	;; [unrolled: 1-line block ×9, first 2 shown]
	s_waitcnt vmcnt(12)
	ds_store_b128 v2, v[4:7]
	s_waitcnt vmcnt(11)
	ds_store_b128 v2, v[8:11] offset:544
	s_waitcnt vmcnt(10)
	ds_store_b128 v2, v[12:15] offset:1088
	;; [unrolled: 2-line block ×12, first 2 shown]
	v_cmpx_eq_u32_e32 33, v78
	s_cbranch_execz .LBB0_13
; %bb.12:
	v_add_co_u32 v0, s0, 0x1000, v0
	s_delay_alu instid0(VALU_DEP_1)
	v_add_co_ci_u32_e64 v1, s0, 0, v1, s0
	v_mov_b32_e32 v78, 33
	global_load_b128 v[4:7], v[0:1], off offset:2976
	s_waitcnt vmcnt(0)
	ds_store_b128 v2, v[4:7] offset:6544
.LBB0_13:
	s_or_b32 exec_lo, exec_lo, s4
.LBB0_14:
	s_delay_alu instid0(SALU_CYCLE_1)
	s_or_b32 exec_lo, exec_lo, s1
	v_lshl_add_u32 v210, v3, 4, 0
	v_lshlrev_b32_e32 v10, 4, v78
	s_waitcnt lgkmcnt(0)
	s_barrier
	buffer_gl0_inv
	s_add_u32 s1, s8, 0x1a90
	v_add_nc_u32_e32 v211, v210, v10
	v_sub_nc_u32_e32 v11, v210, v10
	s_addc_u32 s4, s9, 0
	s_mov_b32 s5, exec_lo
	ds_load_b64 v[6:7], v211
	ds_load_b64 v[8:9], v11 offset:7072
                                        ; implicit-def: $vgpr4_vgpr5
	s_waitcnt lgkmcnt(0)
	v_add_f64 v[0:1], v[6:7], v[8:9]
	v_add_f64 v[2:3], v[6:7], -v[8:9]
	v_cmpx_ne_u32_e32 0, v78
	s_xor_b32 s5, exec_lo, s5
	s_cbranch_execz .LBB0_16
; %bb.15:
	v_mov_b32_e32 v79, 0
	v_add_f64 v[14:15], v[6:7], v[8:9]
	v_add_f64 v[16:17], v[6:7], -v[8:9]
	s_delay_alu instid0(VALU_DEP_3) | instskip(NEXT) | instid1(VALU_DEP_1)
	v_lshlrev_b64 v[0:1], 4, v[78:79]
	v_add_co_u32 v0, s0, s1, v0
	s_delay_alu instid0(VALU_DEP_1)
	v_add_co_ci_u32_e64 v1, s0, s4, v1, s0
	global_load_b128 v[2:5], v[0:1], off
	ds_load_b64 v[0:1], v11 offset:7080
	ds_load_b64 v[12:13], v211 offset:8
	s_waitcnt lgkmcnt(0)
	v_add_f64 v[6:7], v[0:1], v[12:13]
	v_add_f64 v[0:1], v[12:13], -v[0:1]
	s_waitcnt vmcnt(0)
	v_fma_f64 v[8:9], v[16:17], v[4:5], v[14:15]
	v_fma_f64 v[12:13], -v[16:17], v[4:5], v[14:15]
	s_delay_alu instid0(VALU_DEP_3) | instskip(SKIP_1) | instid1(VALU_DEP_4)
	v_fma_f64 v[14:15], v[6:7], v[4:5], -v[0:1]
	v_fma_f64 v[4:5], v[6:7], v[4:5], v[0:1]
	v_fma_f64 v[0:1], -v[6:7], v[2:3], v[8:9]
	s_delay_alu instid0(VALU_DEP_4) | instskip(NEXT) | instid1(VALU_DEP_4)
	v_fma_f64 v[6:7], v[6:7], v[2:3], v[12:13]
	v_fma_f64 v[8:9], v[16:17], v[2:3], v[14:15]
	s_delay_alu instid0(VALU_DEP_4)
	v_fma_f64 v[2:3], v[16:17], v[2:3], v[4:5]
	v_dual_mov_b32 v4, v78 :: v_dual_mov_b32 v5, v79
	ds_store_b128 v11, v[6:9] offset:7072
.LBB0_16:
	s_and_not1_saveexec_b32 s0, s5
	s_cbranch_execz .LBB0_18
; %bb.17:
	ds_load_b128 v[4:7], v210 offset:3536
	s_waitcnt lgkmcnt(0)
	v_add_f64 v[12:13], v[4:5], v[4:5]
	v_mul_f64 v[14:15], v[6:7], -2.0
	v_mov_b32_e32 v4, 0
	v_mov_b32_e32 v5, 0
	ds_store_b128 v210, v[12:15] offset:3536
.LBB0_18:
	s_or_b32 exec_lo, exec_lo, s0
	v_lshlrev_b64 v[4:5], 4, v[4:5]
	s_delay_alu instid0(VALU_DEP_1) | instskip(NEXT) | instid1(VALU_DEP_1)
	v_add_co_u32 v4, s0, s1, v4
	v_add_co_ci_u32_e64 v5, s0, s4, v5, s0
	v_cmp_gt_u32_e64 s0, 17, v78
	s_clause 0x1
	global_load_b128 v[6:9], v[4:5], off offset:544
	global_load_b128 v[12:15], v[4:5], off offset:1088
	ds_store_b128 v211, v[0:3]
	ds_load_b128 v[0:3], v211 offset:544
	ds_load_b128 v[16:19], v11 offset:6528
	global_load_b128 v[20:23], v[4:5], off offset:1632
	s_waitcnt lgkmcnt(0)
	v_add_f64 v[24:25], v[0:1], v[16:17]
	v_add_f64 v[26:27], v[18:19], v[2:3]
	v_add_f64 v[28:29], v[0:1], -v[16:17]
	v_add_f64 v[0:1], v[2:3], -v[18:19]
	s_waitcnt vmcnt(2)
	s_delay_alu instid0(VALU_DEP_2) | instskip(NEXT) | instid1(VALU_DEP_2)
	v_fma_f64 v[2:3], v[28:29], v[8:9], v[24:25]
	v_fma_f64 v[16:17], v[26:27], v[8:9], v[0:1]
	v_fma_f64 v[18:19], -v[28:29], v[8:9], v[24:25]
	v_fma_f64 v[8:9], v[26:27], v[8:9], -v[0:1]
	s_delay_alu instid0(VALU_DEP_4) | instskip(NEXT) | instid1(VALU_DEP_4)
	v_fma_f64 v[0:1], -v[26:27], v[6:7], v[2:3]
	v_fma_f64 v[2:3], v[28:29], v[6:7], v[16:17]
	s_delay_alu instid0(VALU_DEP_4) | instskip(NEXT) | instid1(VALU_DEP_4)
	v_fma_f64 v[16:17], v[26:27], v[6:7], v[18:19]
	v_fma_f64 v[18:19], v[28:29], v[6:7], v[8:9]
	ds_store_b128 v211, v[0:3] offset:544
	ds_store_b128 v11, v[16:19] offset:6528
	ds_load_b128 v[0:3], v211 offset:1088
	ds_load_b128 v[6:9], v11 offset:5984
	global_load_b128 v[16:19], v[4:5], off offset:2176
	s_waitcnt lgkmcnt(0)
	v_add_f64 v[24:25], v[0:1], v[6:7]
	v_add_f64 v[26:27], v[8:9], v[2:3]
	v_add_f64 v[28:29], v[0:1], -v[6:7]
	v_add_f64 v[0:1], v[2:3], -v[8:9]
	s_waitcnt vmcnt(2)
	s_delay_alu instid0(VALU_DEP_2) | instskip(NEXT) | instid1(VALU_DEP_2)
	v_fma_f64 v[2:3], v[28:29], v[14:15], v[24:25]
	v_fma_f64 v[6:7], v[26:27], v[14:15], v[0:1]
	v_fma_f64 v[8:9], -v[28:29], v[14:15], v[24:25]
	v_fma_f64 v[14:15], v[26:27], v[14:15], -v[0:1]
	s_delay_alu instid0(VALU_DEP_4) | instskip(NEXT) | instid1(VALU_DEP_4)
	v_fma_f64 v[0:1], -v[26:27], v[12:13], v[2:3]
	v_fma_f64 v[2:3], v[28:29], v[12:13], v[6:7]
	s_delay_alu instid0(VALU_DEP_4) | instskip(NEXT) | instid1(VALU_DEP_4)
	v_fma_f64 v[6:7], v[26:27], v[12:13], v[8:9]
	v_fma_f64 v[8:9], v[28:29], v[12:13], v[14:15]
	ds_store_b128 v211, v[0:3] offset:1088
	ds_store_b128 v11, v[6:9] offset:5984
	ds_load_b128 v[0:3], v211 offset:1632
	ds_load_b128 v[6:9], v11 offset:5440
	global_load_b128 v[12:15], v[4:5], off offset:2720
	s_waitcnt lgkmcnt(0)
	v_add_f64 v[24:25], v[0:1], v[6:7]
	v_add_f64 v[26:27], v[8:9], v[2:3]
	v_add_f64 v[28:29], v[0:1], -v[6:7]
	v_add_f64 v[0:1], v[2:3], -v[8:9]
	s_waitcnt vmcnt(2)
	s_delay_alu instid0(VALU_DEP_2) | instskip(NEXT) | instid1(VALU_DEP_2)
	v_fma_f64 v[2:3], v[28:29], v[22:23], v[24:25]
	v_fma_f64 v[6:7], v[26:27], v[22:23], v[0:1]
	v_fma_f64 v[8:9], -v[28:29], v[22:23], v[24:25]
	v_fma_f64 v[22:23], v[26:27], v[22:23], -v[0:1]
	s_delay_alu instid0(VALU_DEP_4) | instskip(NEXT) | instid1(VALU_DEP_4)
	v_fma_f64 v[0:1], -v[26:27], v[20:21], v[2:3]
	v_fma_f64 v[2:3], v[28:29], v[20:21], v[6:7]
	s_delay_alu instid0(VALU_DEP_4) | instskip(NEXT) | instid1(VALU_DEP_4)
	v_fma_f64 v[6:7], v[26:27], v[20:21], v[8:9]
	v_fma_f64 v[8:9], v[28:29], v[20:21], v[22:23]
	ds_store_b128 v211, v[0:3] offset:1632
	ds_store_b128 v11, v[6:9] offset:5440
	ds_load_b128 v[0:3], v211 offset:2176
	ds_load_b128 v[6:9], v11 offset:4896
	s_waitcnt lgkmcnt(0)
	v_add_f64 v[20:21], v[0:1], v[6:7]
	v_add_f64 v[22:23], v[8:9], v[2:3]
	v_add_f64 v[24:25], v[0:1], -v[6:7]
	v_add_f64 v[0:1], v[2:3], -v[8:9]
	s_waitcnt vmcnt(1)
	s_delay_alu instid0(VALU_DEP_2) | instskip(NEXT) | instid1(VALU_DEP_2)
	v_fma_f64 v[2:3], v[24:25], v[18:19], v[20:21]
	v_fma_f64 v[6:7], v[22:23], v[18:19], v[0:1]
	v_fma_f64 v[8:9], -v[24:25], v[18:19], v[20:21]
	v_fma_f64 v[18:19], v[22:23], v[18:19], -v[0:1]
	s_delay_alu instid0(VALU_DEP_4) | instskip(NEXT) | instid1(VALU_DEP_4)
	v_fma_f64 v[0:1], -v[22:23], v[16:17], v[2:3]
	v_fma_f64 v[2:3], v[24:25], v[16:17], v[6:7]
	s_delay_alu instid0(VALU_DEP_4) | instskip(NEXT) | instid1(VALU_DEP_4)
	v_fma_f64 v[6:7], v[22:23], v[16:17], v[8:9]
	v_fma_f64 v[8:9], v[24:25], v[16:17], v[18:19]
	ds_store_b128 v211, v[0:3] offset:2176
	ds_store_b128 v11, v[6:9] offset:4896
	ds_load_b128 v[0:3], v211 offset:2720
	ds_load_b128 v[6:9], v11 offset:4352
	s_waitcnt lgkmcnt(0)
	v_add_f64 v[16:17], v[0:1], v[6:7]
	v_add_f64 v[18:19], v[8:9], v[2:3]
	v_add_f64 v[20:21], v[0:1], -v[6:7]
	v_add_f64 v[0:1], v[2:3], -v[8:9]
	s_waitcnt vmcnt(0)
	s_delay_alu instid0(VALU_DEP_2) | instskip(NEXT) | instid1(VALU_DEP_2)
	v_fma_f64 v[2:3], v[20:21], v[14:15], v[16:17]
	v_fma_f64 v[6:7], v[18:19], v[14:15], v[0:1]
	v_fma_f64 v[8:9], -v[20:21], v[14:15], v[16:17]
	v_fma_f64 v[14:15], v[18:19], v[14:15], -v[0:1]
	s_delay_alu instid0(VALU_DEP_4) | instskip(NEXT) | instid1(VALU_DEP_4)
	v_fma_f64 v[0:1], -v[18:19], v[12:13], v[2:3]
	v_fma_f64 v[2:3], v[20:21], v[12:13], v[6:7]
	s_delay_alu instid0(VALU_DEP_4) | instskip(NEXT) | instid1(VALU_DEP_4)
	v_fma_f64 v[6:7], v[18:19], v[12:13], v[8:9]
	v_fma_f64 v[8:9], v[20:21], v[12:13], v[14:15]
	ds_store_b128 v211, v[0:3] offset:2720
	ds_store_b128 v11, v[6:9] offset:4352
	s_and_saveexec_b32 s1, s0
	s_cbranch_execz .LBB0_20
; %bb.19:
	global_load_b128 v[0:3], v[4:5], off offset:3264
	ds_load_b128 v[4:7], v211 offset:3264
	ds_load_b128 v[12:15], v11 offset:3808
	s_waitcnt lgkmcnt(0)
	v_add_f64 v[8:9], v[4:5], v[12:13]
	v_add_f64 v[16:17], v[14:15], v[6:7]
	v_add_f64 v[12:13], v[4:5], -v[12:13]
	v_add_f64 v[4:5], v[6:7], -v[14:15]
	s_waitcnt vmcnt(0)
	s_delay_alu instid0(VALU_DEP_2) | instskip(NEXT) | instid1(VALU_DEP_2)
	v_fma_f64 v[6:7], v[12:13], v[2:3], v[8:9]
	v_fma_f64 v[14:15], v[16:17], v[2:3], v[4:5]
	v_fma_f64 v[8:9], -v[12:13], v[2:3], v[8:9]
	v_fma_f64 v[18:19], v[16:17], v[2:3], -v[4:5]
	s_delay_alu instid0(VALU_DEP_4) | instskip(NEXT) | instid1(VALU_DEP_4)
	v_fma_f64 v[2:3], -v[16:17], v[0:1], v[6:7]
	v_fma_f64 v[4:5], v[12:13], v[0:1], v[14:15]
	s_delay_alu instid0(VALU_DEP_4) | instskip(NEXT) | instid1(VALU_DEP_4)
	v_fma_f64 v[6:7], v[16:17], v[0:1], v[8:9]
	v_fma_f64 v[8:9], v[12:13], v[0:1], v[18:19]
	ds_store_b128 v211, v[2:5] offset:3264
	ds_store_b128 v11, v[6:9] offset:3808
.LBB0_20:
	s_or_b32 exec_lo, exec_lo, s1
	v_add3_u32 v79, 0, v10, v212
	s_waitcnt lgkmcnt(0)
	s_barrier
	buffer_gl0_inv
	s_barrier
	buffer_gl0_inv
	ds_load_b128 v[8:11], v79 offset:6656
	ds_load_b128 v[32:35], v79 offset:416
	ds_load_b128 v[12:15], v211
	ds_load_b128 v[16:19], v79 offset:6240
	ds_load_b128 v[36:39], v79 offset:832
	s_mov_b32 s10, 0xeb564b22
	s_mov_b32 s4, 0x923c349f
	;; [unrolled: 1-line block ×4, first 2 shown]
	ds_load_b128 v[40:43], v79 offset:1248
	ds_load_b128 v[20:23], v79 offset:5824
	s_mov_b32 s16, 0x3259b75e
	s_mov_b32 s28, 0xacd6c6b4
	;; [unrolled: 1-line block ×8, first 2 shown]
	ds_load_b128 v[24:27], v79 offset:5408
	ds_load_b128 v[52:55], v79 offset:1664
	s_mov_b32 s18, 0x7faef3
	s_mov_b32 s20, 0x910ea3b9
	s_mov_b32 s24, 0x2a9d6da3
	s_waitcnt lgkmcnt(7)
	v_add_f64 v[148:149], v[34:35], -v[10:11]
	v_add_f64 v[150:151], v[32:33], -v[8:9]
	s_waitcnt lgkmcnt(4)
	v_add_f64 v[168:169], v[38:39], -v[18:19]
	v_add_f64 v[82:83], v[36:37], -v[16:17]
	v_add_f64 v[144:145], v[32:33], v[8:9]
	v_add_f64 v[162:163], v[34:35], v[10:11]
	;; [unrolled: 1-line block ×3, first 2 shown]
	s_waitcnt lgkmcnt(2)
	v_add_f64 v[100:101], v[42:43], -v[22:23]
	v_add_f64 v[86:87], v[40:41], -v[20:21]
	v_add_f64 v[104:105], v[38:39], v[18:19]
	s_mov_b32 s19, 0xbfef7484
	s_mov_b32 s23, 0x3feec746
	;; [unrolled: 1-line block ×5, first 2 shown]
	v_add_f64 v[90:91], v[40:41], v[20:21]
	v_add_f64 v[112:113], v[42:43], v[22:23]
	s_waitcnt lgkmcnt(0)
	v_add_f64 v[106:107], v[54:55], -v[26:27]
	v_add_f64 v[92:93], v[52:53], -v[24:25]
	ds_load_b128 v[56:59], v79 offset:2080
	ds_load_b128 v[28:31], v79 offset:4992
	s_mov_b32 s38, 0x5d8e7cdc
	s_mov_b32 s30, 0x7c9e640b
	;; [unrolled: 1-line block ×6, first 2 shown]
	v_add_f64 v[94:95], v[52:53], v[24:25]
	v_add_f64 v[120:121], v[54:55], v[26:27]
	s_mov_b32 s36, 0x370991
	s_mov_b32 s34, 0x2b2883cd
	;; [unrolled: 1-line block ×10, first 2 shown]
	v_mul_f64 v[206:207], v[148:149], s[10:11]
	v_mul_f64 v[170:171], v[150:151], s[10:11]
	;; [unrolled: 1-line block ×12, first 2 shown]
	s_waitcnt lgkmcnt(0)
	v_add_f64 v[114:115], v[58:59], -v[30:31]
	v_add_f64 v[96:97], v[56:57], -v[28:29]
	v_add_f64 v[98:99], v[56:57], v[28:29]
	v_add_f64 v[126:127], v[58:59], v[30:31]
	s_mov_b32 s49, 0xbfd71e95
	v_mul_f64 v[174:175], v[106:107], s[38:39]
	v_mul_f64 v[178:179], v[92:93], s[38:39]
	;; [unrolled: 1-line block ×4, first 2 shown]
	s_mov_b32 s48, s38
	s_mov_b32 s46, 0x6ed5f1bb
	;; [unrolled: 1-line block ×5, first 2 shown]
	s_mov_b32 s33, exec_lo
	v_fma_f64 v[0:1], v[144:145], s[16:17], v[206:207]
	v_fma_f64 v[2:3], v[162:163], s[16:17], -v[170:171]
	v_fma_f64 v[4:5], v[144:145], s[14:15], v[84:85]
	v_fma_f64 v[6:7], v[162:163], s[14:15], -v[208:209]
	;; [unrolled: 2-line block ×6, first 2 shown]
	v_mul_f64 v[182:183], v[114:115], s[30:31]
	v_mul_f64 v[188:189], v[96:97], s[30:31]
	;; [unrolled: 1-line block ×4, first 2 shown]
	v_fma_f64 v[116:117], v[94:95], s[36:37], v[174:175]
	v_fma_f64 v[118:119], v[120:121], s[36:37], -v[178:179]
	v_fma_f64 v[124:125], v[94:95], s[34:35], v[200:201]
	v_fma_f64 v[132:133], v[120:121], s[34:35], -v[229:230]
	v_add_f64 v[0:1], v[12:13], v[0:1]
	v_add_f64 v[2:3], v[14:15], v[2:3]
	v_add_f64 v[4:5], v[12:13], v[4:5]
	v_add_f64 v[6:7], v[14:15], v[6:7]
	v_fma_f64 v[136:137], v[98:99], s[34:35], v[182:183]
	v_fma_f64 v[186:187], v[126:127], s[34:35], -v[188:189]
	v_fma_f64 v[190:191], v[98:99], s[18:19], v[166:167]
	v_fma_f64 v[202:203], v[126:127], s[18:19], -v[172:173]
	v_add_f64 v[0:1], v[44:45], v[0:1]
	v_add_f64 v[2:3], v[46:47], v[2:3]
	;; [unrolled: 1-line block ×4, first 2 shown]
	ds_load_b128 v[44:47], v79 offset:4576
	ds_load_b128 v[64:67], v79 offset:2496
	;; [unrolled: 1-line block ×4, first 2 shown]
	s_waitcnt lgkmcnt(2)
	v_add_f64 v[122:123], v[66:67], -v[46:47]
	v_add_f64 v[102:103], v[64:65], -v[44:45]
	v_add_f64 v[108:109], v[64:65], v[44:45]
	v_add_f64 v[130:131], v[66:67], v[46:47]
	s_waitcnt lgkmcnt(0)
	v_add_f64 v[128:129], v[70:71], -v[50:51]
	v_add_f64 v[110:111], v[68:69], -v[48:49]
	v_add_f64 v[134:135], v[70:71], v[50:51]
	v_add_f64 v[0:1], v[60:61], v[0:1]
	;; [unrolled: 1-line block ×5, first 2 shown]
	ds_load_b128 v[72:75], v79 offset:3328
	ds_load_b128 v[60:63], v79 offset:3744
	s_waitcnt lgkmcnt(0)
	s_barrier
	buffer_gl0_inv
	v_mul_f64 v[192:193], v[122:123], s[44:45]
	v_mul_f64 v[194:195], v[102:103], s[44:45]
	;; [unrolled: 1-line block ×8, first 2 shown]
	v_add_f64 v[0:1], v[116:117], v[0:1]
	v_add_f64 v[2:3], v[118:119], v[2:3]
	;; [unrolled: 1-line block ×5, first 2 shown]
	v_add_f64 v[132:133], v[74:75], -v[62:63]
	v_add_f64 v[118:119], v[72:73], -v[60:61]
	v_add_f64 v[124:125], v[72:73], v[60:61]
	v_fma_f64 v[213:214], v[108:109], s[20:21], v[192:193]
	v_fma_f64 v[215:216], v[130:131], s[20:21], -v[194:195]
	v_fma_f64 v[217:218], v[108:109], s[16:17], v[176:177]
	v_fma_f64 v[219:220], v[130:131], s[16:17], -v[184:185]
	v_fma_f64 v[223:224], v[134:135], s[46:47], -v[152:153]
	;; [unrolled: 1-line block ×3, first 2 shown]
	v_add_f64 v[0:1], v[136:137], v[0:1]
	v_add_f64 v[2:3], v[186:187], v[2:3]
	;; [unrolled: 1-line block ×5, first 2 shown]
	v_mul_f64 v[156:157], v[132:133], s[24:25]
	v_mul_f64 v[158:159], v[118:119], s[24:25]
	;; [unrolled: 1-line block ×4, first 2 shown]
	v_fma_f64 v[221:222], v[116:117], s[46:47], v[146:147]
	v_fma_f64 v[225:226], v[116:117], s[36:37], v[180:181]
	v_add_f64 v[0:1], v[213:214], v[0:1]
	v_add_f64 v[2:3], v[215:216], v[2:3]
	;; [unrolled: 1-line block ×4, first 2 shown]
	v_fma_f64 v[213:214], v[124:125], s[26:27], v[156:157]
	v_fma_f64 v[215:216], v[136:137], s[26:27], -v[158:159]
	v_fma_f64 v[217:218], v[124:125], s[46:47], v[186:187]
	v_fma_f64 v[219:220], v[136:137], s[46:47], -v[190:191]
	v_add_f64 v[0:1], v[221:222], v[0:1]
	v_add_f64 v[2:3], v[223:224], v[2:3]
	;; [unrolled: 1-line block ×4, first 2 shown]
	s_delay_alu instid0(VALU_DEP_4) | instskip(NEXT) | instid1(VALU_DEP_4)
	v_add_f64 v[4:5], v[213:214], v[0:1]
	v_add_f64 v[6:7], v[215:216], v[2:3]
	s_delay_alu instid0(VALU_DEP_4) | instskip(NEXT) | instid1(VALU_DEP_4)
	v_add_f64 v[0:1], v[217:218], v[221:222]
	v_add_f64 v[2:3], v[219:220], v[223:224]
	v_cmpx_gt_u32_e32 26, v78
	s_cbranch_execz .LBB0_22
; %bb.21:
	v_add_f64 v[34:35], v[14:15], v[34:35]
	v_add_f64 v[32:33], v[12:13], v[32:33]
	s_mov_b32 s57, 0xbfe58eea
	s_mov_b32 s56, s24
	;; [unrolled: 1-line block ×6, first 2 shown]
	v_mul_f64 v[215:216], v[136:137], s[16:17]
	v_mul_f64 v[217:218], v[132:133], s[40:41]
	;; [unrolled: 1-line block ×20, first 2 shown]
	v_add_f64 v[34:35], v[34:35], v[38:39]
	v_add_f64 v[32:33], v[32:33], v[36:37]
	s_delay_alu instid0(VALU_DEP_2) | instskip(NEXT) | instid1(VALU_DEP_2)
	v_add_f64 v[34:35], v[34:35], v[42:43]
	v_add_f64 v[32:33], v[32:33], v[40:41]
	s_delay_alu instid0(VALU_DEP_2) | instskip(NEXT) | instid1(VALU_DEP_2)
	v_add_f64 v[34:35], v[34:35], v[54:55]
	v_add_f64 v[32:33], v[32:33], v[52:53]
	v_mul_f64 v[52:53], v[148:149], s[50:51]
	v_mul_f64 v[54:55], v[148:149], s[30:31]
	s_delay_alu instid0(VALU_DEP_4) | instskip(NEXT) | instid1(VALU_DEP_4)
	v_add_f64 v[34:35], v[34:35], v[58:59]
	v_add_f64 v[32:33], v[32:33], v[56:57]
	v_mul_f64 v[56:57], v[148:149], s[48:49]
	v_mul_f64 v[58:59], v[148:149], s[56:57]
	s_delay_alu instid0(VALU_DEP_4) | instskip(NEXT) | instid1(VALU_DEP_4)
	v_add_f64 v[34:35], v[34:35], v[66:67]
	v_add_f64 v[32:33], v[32:33], v[64:65]
	v_fma_f64 v[64:65], v[144:145], s[46:47], v[52:53]
	v_fma_f64 v[52:53], v[144:145], s[46:47], -v[52:53]
	v_fma_f64 v[66:67], v[144:145], s[34:35], v[54:55]
	v_fma_f64 v[54:55], v[144:145], s[34:35], -v[54:55]
	v_add_f64 v[34:35], v[34:35], v[70:71]
	v_add_f64 v[32:33], v[32:33], v[68:69]
	v_fma_f64 v[68:69], v[144:145], s[36:37], v[56:57]
	v_fma_f64 v[56:57], v[144:145], s[36:37], -v[56:57]
	v_fma_f64 v[70:71], v[144:145], s[26:27], v[58:59]
	v_fma_f64 v[58:59], v[144:145], s[26:27], -v[58:59]
	v_add_f64 v[64:65], v[12:13], v[64:65]
	v_add_f64 v[66:67], v[12:13], v[66:67]
	;; [unrolled: 1-line block ×6, first 2 shown]
	s_delay_alu instid0(VALU_DEP_4) | instskip(NEXT) | instid1(VALU_DEP_4)
	v_add_f64 v[34:35], v[34:35], v[62:63]
	v_add_f64 v[32:33], v[32:33], v[60:61]
	s_delay_alu instid0(VALU_DEP_2) | instskip(NEXT) | instid1(VALU_DEP_2)
	v_add_f64 v[34:35], v[34:35], v[50:51]
	v_add_f64 v[36:37], v[32:33], v[48:49]
	v_mul_f64 v[48:49], v[148:149], s[28:29]
	v_mul_f64 v[50:51], v[148:149], s[44:45]
	s_delay_alu instid0(VALU_DEP_4) | instskip(NEXT) | instid1(VALU_DEP_4)
	v_add_f64 v[32:33], v[34:35], v[46:47]
	v_add_f64 v[34:35], v[36:37], v[44:45]
	s_delay_alu instid0(VALU_DEP_4)
	v_fma_f64 v[60:61], v[144:145], s[18:19], v[48:49]
	v_fma_f64 v[48:49], v[144:145], s[18:19], -v[48:49]
	v_fma_f64 v[62:63], v[144:145], s[20:21], v[50:51]
	v_fma_f64 v[50:51], v[144:145], s[20:21], -v[50:51]
	v_add_f64 v[30:31], v[32:33], v[30:31]
	v_add_f64 v[28:29], v[34:35], v[28:29]
	v_mul_f64 v[32:33], v[162:163], s[26:27]
	v_mul_f64 v[34:35], v[162:163], s[36:37]
	v_add_f64 v[60:61], v[12:13], v[60:61]
	v_add_f64 v[48:49], v[12:13], v[48:49]
	;; [unrolled: 1-line block ×6, first 2 shown]
	v_mul_f64 v[28:29], v[162:163], s[46:47]
	v_fma_f64 v[44:45], v[150:151], s[24:25], v[32:33]
	v_fma_f64 v[46:47], v[150:151], s[38:39], v[34:35]
	v_mul_f64 v[30:31], v[162:163], s[34:35]
	v_fma_f64 v[32:33], v[150:151], s[56:57], v[32:33]
	v_fma_f64 v[34:35], v[150:151], s[48:49], v[34:35]
	v_add_f64 v[22:23], v[26:27], v[22:23]
	v_add_f64 v[20:21], v[24:25], v[20:21]
	v_fma_f64 v[40:41], v[150:151], s[42:43], v[28:29]
	v_mul_f64 v[24:25], v[162:163], s[18:19]
	v_mul_f64 v[26:27], v[162:163], s[20:21]
	v_fma_f64 v[42:43], v[150:151], s[54:55], v[30:31]
	v_fma_f64 v[30:31], v[150:151], s[30:31], v[30:31]
	;; [unrolled: 1-line block ×3, first 2 shown]
	v_add_f64 v[18:19], v[22:23], v[18:19]
	v_add_f64 v[16:17], v[20:21], v[16:17]
	v_mul_f64 v[22:23], v[144:145], s[16:17]
	v_mul_f64 v[20:21], v[162:163], s[16:17]
	v_fma_f64 v[36:37], v[150:151], s[52:53], v[24:25]
	v_fma_f64 v[38:39], v[150:151], s[12:13], v[26:27]
	;; [unrolled: 1-line block ×4, first 2 shown]
	v_add_f64 v[10:11], v[18:19], v[10:11]
	v_add_f64 v[8:9], v[16:17], v[8:9]
	v_mul_f64 v[16:17], v[162:163], s[14:15]
	v_mul_f64 v[18:19], v[144:145], s[14:15]
	v_add_f64 v[144:145], v[14:15], v[40:41]
	v_add_f64 v[40:41], v[12:13], v[52:53]
	v_add_f64 v[22:23], v[22:23], -v[206:207]
	v_add_f64 v[20:21], v[170:171], v[20:21]
	v_add_f64 v[36:37], v[14:15], v[36:37]
	;; [unrolled: 1-line block ×6, first 2 shown]
	v_mul_f64 v[32:33], v[112:113], s[20:21]
	v_add_f64 v[72:73], v[14:15], v[38:39]
	v_add_f64 v[38:39], v[14:15], v[28:29]
	;; [unrolled: 1-line block ×4, first 2 shown]
	v_mul_f64 v[206:207], v[122:123], s[50:51]
	v_add_f64 v[16:17], v[208:209], v[16:17]
	v_add_f64 v[18:19], v[18:19], -v[84:85]
	v_mul_f64 v[84:85], v[136:137], s[20:21]
	v_add_f64 v[150:151], v[12:13], v[22:23]
	v_add_f64 v[22:23], v[12:13], v[56:57]
	;; [unrolled: 1-line block ×5, first 2 shown]
	v_fma_f64 v[34:35], v[86:87], s[12:13], v[32:33]
	v_add_f64 v[52:53], v[14:15], v[16:17]
	v_add_f64 v[16:17], v[14:15], v[44:45]
	;; [unrolled: 1-line block ×3, first 2 shown]
	v_mul_f64 v[18:19], v[168:169], s[38:39]
	scratch_store_b64 off, v[16:17], off offset:8 ; 8-byte Folded Spill
	v_add_f64 v[16:17], v[14:15], v[46:47]
	v_fma_f64 v[14:15], v[88:89], s[36:37], v[18:19]
	v_fma_f64 v[18:19], v[88:89], s[36:37], -v[18:19]
	scratch_store_b64 off, v[16:17], off    ; 8-byte Folded Spill
	v_mul_f64 v[16:17], v[104:105], s[36:37]
	v_add_f64 v[14:15], v[14:15], v[60:61]
	v_add_f64 v[18:19], v[18:19], v[48:49]
	v_mul_f64 v[48:49], v[98:99], s[34:35]
	s_delay_alu instid0(VALU_DEP_4) | instskip(SKIP_1) | instid1(VALU_DEP_3)
	v_fma_f64 v[12:13], v[82:83], s[48:49], v[16:17]
	v_fma_f64 v[16:17], v[82:83], s[38:39], v[16:17]
	v_add_f64 v[48:49], v[48:49], -v[182:183]
	s_delay_alu instid0(VALU_DEP_3) | instskip(NEXT) | instid1(VALU_DEP_3)
	v_add_f64 v[12:13], v[12:13], v[36:37]
	v_add_f64 v[16:17], v[16:17], v[24:25]
	v_fma_f64 v[24:25], v[86:87], s[44:45], v[32:33]
	v_fma_f64 v[32:33], v[124:125], s[16:17], -v[217:218]
	s_delay_alu instid0(VALU_DEP_4) | instskip(SKIP_1) | instid1(VALU_DEP_4)
	v_add_f64 v[12:13], v[34:35], v[12:13]
	v_mul_f64 v[34:35], v[100:101], s[44:45]
	v_add_f64 v[16:17], v[24:25], v[16:17]
	s_delay_alu instid0(VALU_DEP_2) | instskip(SKIP_2) | instid1(VALU_DEP_3)
	v_fma_f64 v[36:37], v[90:91], s[20:21], v[34:35]
	v_fma_f64 v[24:25], v[90:91], s[20:21], -v[34:35]
	v_mul_f64 v[34:35], v[112:113], s[14:15]
	v_add_f64 v[14:15], v[36:37], v[14:15]
	v_mul_f64 v[36:37], v[120:121], s[26:27]
	s_delay_alu instid0(VALU_DEP_4) | instskip(NEXT) | instid1(VALU_DEP_4)
	v_add_f64 v[18:19], v[24:25], v[18:19]
	v_add_f64 v[34:35], v[164:165], v[34:35]
	v_mul_f64 v[164:165], v[134:135], s[18:19]
	s_delay_alu instid0(VALU_DEP_4) | instskip(SKIP_2) | instid1(VALU_DEP_3)
	v_fma_f64 v[42:43], v[92:93], s[56:57], v[36:37]
	v_fma_f64 v[24:25], v[92:93], s[24:25], v[36:37]
	v_mul_f64 v[36:37], v[104:105], s[18:19]
	v_add_f64 v[12:13], v[42:43], v[12:13]
	v_mul_f64 v[42:43], v[106:107], s[24:25]
	s_delay_alu instid0(VALU_DEP_4) | instskip(NEXT) | instid1(VALU_DEP_4)
	v_add_f64 v[16:17], v[24:25], v[16:17]
	v_add_f64 v[36:37], v[154:155], v[36:37]
	v_mul_f64 v[154:155], v[130:131], s[20:21]
	s_delay_alu instid0(VALU_DEP_4)
	v_fma_f64 v[44:45], v[94:95], s[26:27], v[42:43]
	v_fma_f64 v[24:25], v[94:95], s[26:27], -v[42:43]
	v_mul_f64 v[42:43], v[90:91], s[14:15]
	v_add_f64 v[28:29], v[36:37], v[28:29]
	v_add_f64 v[154:155], v[194:195], v[154:155]
	v_mul_f64 v[194:195], v[136:137], s[14:15]
	v_add_f64 v[14:15], v[44:45], v[14:15]
	v_mul_f64 v[44:45], v[126:127], s[46:47]
	v_add_f64 v[18:19], v[24:25], v[18:19]
	v_add_f64 v[42:43], v[42:43], -v[160:161]
	v_add_f64 v[28:29], v[34:35], v[28:29]
	v_mul_f64 v[160:161], v[122:123], s[56:57]
	v_fma_f64 v[46:47], v[96:97], s[42:43], v[44:45]
	v_fma_f64 v[24:25], v[96:97], s[50:51], v[44:45]
	v_mul_f64 v[44:45], v[88:89], s[18:19]
	s_delay_alu instid0(VALU_DEP_3) | instskip(SKIP_1) | instid1(VALU_DEP_4)
	v_add_f64 v[12:13], v[46:47], v[12:13]
	v_mul_f64 v[46:47], v[114:115], s[50:51]
	v_add_f64 v[16:17], v[24:25], v[16:17]
	s_delay_alu instid0(VALU_DEP_2) | instskip(SKIP_3) | instid1(VALU_DEP_2)
	v_fma_f64 v[54:55], v[98:99], s[46:47], v[46:47]
	v_fma_f64 v[24:25], v[98:99], s[46:47], -v[46:47]
	v_dual_mov_b32 v46, v204 :: v_dual_mov_b32 v47, v205
	v_mul_f64 v[204:205], v[128:129], s[10:11]
	v_add_f64 v[44:45], v[44:45], -v[46:47]
	v_mul_f64 v[46:47], v[94:95], s[36:37]
	v_add_f64 v[14:15], v[54:55], v[14:15]
	v_mul_f64 v[54:55], v[130:131], s[34:35]
	v_add_f64 v[18:19], v[24:25], v[18:19]
	v_add_f64 v[36:37], v[44:45], v[150:151]
	v_add_f64 v[46:47], v[46:47], -v[174:175]
	v_mul_f64 v[44:45], v[108:109], s[20:21]
	v_mul_f64 v[150:151], v[90:91], s[26:27]
	;; [unrolled: 1-line block ×3, first 2 shown]
	v_fma_f64 v[58:59], v[102:103], s[30:31], v[54:55]
	v_fma_f64 v[24:25], v[102:103], s[54:55], v[54:55]
	v_mul_f64 v[54:55], v[104:105], s[46:47]
	v_add_f64 v[34:35], v[42:43], v[36:37]
	v_mul_f64 v[36:37], v[134:135], s[46:47]
	v_add_f64 v[44:45], v[44:45], -v[192:193]
	v_mul_f64 v[42:43], v[124:125], s[26:27]
	v_add_f64 v[150:151], v[150:151], -v[142:143]
	v_add_f64 v[12:13], v[58:59], v[12:13]
	v_mul_f64 v[58:59], v[122:123], s[54:55]
	v_add_f64 v[16:17], v[24:25], v[16:17]
	v_add_f64 v[36:37], v[152:153], v[36:37]
	v_mul_f64 v[152:153], v[106:107], s[44:45]
	v_add_f64 v[42:43], v[42:43], -v[156:157]
	v_mul_f64 v[156:157], v[114:115], s[40:41]
	v_fma_f64 v[60:61], v[108:109], s[34:35], v[58:59]
	v_fma_f64 v[24:25], v[108:109], s[34:35], -v[58:59]
	v_mul_f64 v[58:59], v[168:169], s[50:51]
	s_delay_alu instid0(VALU_DEP_3) | instskip(SKIP_1) | instid1(VALU_DEP_4)
	v_add_f64 v[14:15], v[60:61], v[14:15]
	v_mul_f64 v[60:61], v[134:135], s[14:15]
	v_add_f64 v[18:19], v[24:25], v[18:19]
	s_delay_alu instid0(VALU_DEP_2) | instskip(SKIP_2) | instid1(VALU_DEP_3)
	v_fma_f64 v[208:209], v[110:111], s[22:23], v[60:61]
	v_fma_f64 v[24:25], v[110:111], s[4:5], v[60:61]
	v_mul_f64 v[60:61], v[112:113], s[18:19]
	v_add_f64 v[12:13], v[208:209], v[12:13]
	v_mul_f64 v[208:209], v[128:129], s[4:5]
	s_delay_alu instid0(VALU_DEP_4) | instskip(NEXT) | instid1(VALU_DEP_2)
	v_add_f64 v[16:17], v[24:25], v[16:17]
	v_fma_f64 v[213:214], v[116:117], s[14:15], v[208:209]
	v_fma_f64 v[24:25], v[116:117], s[14:15], -v[208:209]
	v_mul_f64 v[208:209], v[104:105], s[26:27]
	s_delay_alu instid0(VALU_DEP_3) | instskip(SKIP_1) | instid1(VALU_DEP_4)
	v_add_f64 v[213:214], v[213:214], v[14:15]
	v_fma_f64 v[14:15], v[118:119], s[10:11], v[215:216]
	v_add_f64 v[24:25], v[24:25], v[18:19]
	v_fma_f64 v[18:19], v[118:119], s[40:41], v[215:216]
	v_mul_f64 v[215:216], v[112:113], s[34:35]
	s_delay_alu instid0(VALU_DEP_4) | instskip(SKIP_1) | instid1(VALU_DEP_4)
	v_add_f64 v[14:15], v[14:15], v[12:13]
	v_fma_f64 v[12:13], v[124:125], s[16:17], v[217:218]
	v_add_f64 v[18:19], v[18:19], v[16:17]
	v_add_f64 v[16:17], v[32:33], v[24:25]
	v_fma_f64 v[24:25], v[82:83], s[56:57], v[208:209]
	v_mul_f64 v[217:218], v[100:101], s[30:31]
	v_mul_f64 v[32:33], v[120:121], s[36:37]
	v_add_f64 v[12:13], v[12:13], v[213:214]
	v_mul_f64 v[213:214], v[168:169], s[56:57]
	v_add_f64 v[20:21], v[24:25], v[20:21]
	s_delay_alu instid0(VALU_DEP_4) | instskip(NEXT) | instid1(VALU_DEP_3)
	v_add_f64 v[32:33], v[178:179], v[32:33]
	v_fma_f64 v[24:25], v[88:89], s[26:27], -v[213:214]
	s_delay_alu instid0(VALU_DEP_2)
	v_add_f64 v[28:29], v[32:33], v[28:29]
	v_add_f64 v[32:33], v[46:47], v[34:35]
	v_mul_f64 v[34:35], v[116:117], s[46:47]
	v_mul_f64 v[46:47], v[104:105], s[20:21]
	v_add_f64 v[22:23], v[24:25], v[22:23]
	v_fma_f64 v[24:25], v[86:87], s[30:31], v[215:216]
	s_delay_alu instid0(VALU_DEP_4) | instskip(SKIP_2) | instid1(VALU_DEP_4)
	v_add_f64 v[34:35], v[34:35], -v[146:147]
	v_mul_f64 v[146:147], v[88:89], s[20:21]
	v_add_f64 v[46:47], v[140:141], v[46:47]
	v_add_f64 v[20:21], v[24:25], v[20:21]
	v_fma_f64 v[24:25], v[90:91], s[34:35], -v[217:218]
	s_delay_alu instid0(VALU_DEP_4) | instskip(NEXT) | instid1(VALU_DEP_4)
	v_add_f64 v[146:147], v[146:147], -v[138:139]
	v_add_f64 v[46:47], v[46:47], v[52:53]
	s_delay_alu instid0(VALU_DEP_3) | instskip(SKIP_1) | instid1(VALU_DEP_4)
	v_add_f64 v[22:23], v[24:25], v[22:23]
	v_fma_f64 v[24:25], v[92:93], s[10:11], v[219:220]
	v_add_f64 v[52:53], v[146:147], v[148:149]
	v_mul_f64 v[146:147], v[94:95], s[34:35]
	v_mul_f64 v[148:149], v[100:101], s[48:49]
	s_delay_alu instid0(VALU_DEP_4) | instskip(SKIP_1) | instid1(VALU_DEP_4)
	v_add_f64 v[20:21], v[24:25], v[20:21]
	v_fma_f64 v[24:25], v[94:95], s[16:17], -v[221:222]
	v_add_f64 v[146:147], v[146:147], -v[200:201]
	s_delay_alu instid0(VALU_DEP_2) | instskip(SKIP_1) | instid1(VALU_DEP_1)
	v_add_f64 v[22:23], v[24:25], v[22:23]
	v_fma_f64 v[24:25], v[96:97], s[4:5], v[223:224]
	v_add_f64 v[20:21], v[24:25], v[20:21]
	v_fma_f64 v[24:25], v[98:99], s[14:15], -v[225:226]
	s_delay_alu instid0(VALU_DEP_1) | instskip(SKIP_1) | instid1(VALU_DEP_1)
	v_add_f64 v[22:23], v[24:25], v[22:23]
	v_fma_f64 v[24:25], v[102:103], s[50:51], v[227:228]
	v_add_f64 v[20:21], v[24:25], v[20:21]
	v_fma_f64 v[24:25], v[108:109], s[46:47], -v[206:207]
	s_delay_alu instid0(VALU_DEP_1) | instskip(SKIP_1) | instid1(VALU_DEP_1)
	;; [unrolled: 5-line block ×11, first 2 shown]
	v_add_f64 v[24:25], v[24:25], v[30:31]
	v_mul_f64 v[30:31], v[126:127], s[34:35]
	v_add_f64 v[30:31], v[188:189], v[30:31]
	s_delay_alu instid0(VALU_DEP_1) | instskip(SKIP_3) | instid1(VALU_DEP_4)
	v_add_f64 v[28:29], v[30:31], v[28:29]
	v_add_f64 v[30:31], v[48:49], v[32:33]
	v_mul_f64 v[32:33], v[136:137], s[26:27]
	v_mul_f64 v[48:49], v[98:99], s[18:19]
	v_add_f64 v[28:29], v[154:155], v[28:29]
	s_delay_alu instid0(VALU_DEP_4) | instskip(NEXT) | instid1(VALU_DEP_4)
	v_add_f64 v[30:31], v[44:45], v[30:31]
	v_add_f64 v[32:33], v[158:159], v[32:33]
	v_mul_f64 v[44:45], v[112:113], s[26:27]
	v_add_f64 v[48:49], v[48:49], -v[166:167]
	v_mul_f64 v[154:155], v[126:127], s[16:17]
	v_mul_f64 v[158:159], v[130:131], s[26:27]
	;; [unrolled: 1-line block ×3, first 2 shown]
	v_add_f64 v[28:29], v[36:37], v[28:29]
	v_add_f64 v[34:35], v[34:35], v[30:31]
	v_mul_f64 v[36:37], v[126:127], s[18:19]
	v_add_f64 v[44:45], v[198:199], v[44:45]
	s_delay_alu instid0(VALU_DEP_4) | instskip(NEXT) | instid1(VALU_DEP_4)
	v_add_f64 v[30:31], v[32:33], v[28:29]
	v_add_f64 v[28:29], v[42:43], v[34:35]
	v_mul_f64 v[42:43], v[120:121], s[34:35]
	s_delay_alu instid0(VALU_DEP_4)
	v_add_f64 v[44:45], v[44:45], v[46:47]
	v_add_f64 v[46:47], v[150:151], v[52:53]
	v_mul_f64 v[34:35], v[130:131], s[16:17]
	v_add_f64 v[36:37], v[172:173], v[36:37]
	v_mul_f64 v[52:53], v[108:109], s[16:17]
	v_mul_f64 v[32:33], v[134:135], s[36:37]
	v_mul_f64 v[150:151], v[120:121], s[20:21]
	v_mul_f64 v[172:173], v[136:137], s[34:35]
	v_add_f64 v[42:43], v[229:230], v[42:43]
	v_add_f64 v[34:35], v[184:185], v[34:35]
	v_add_f64 v[52:53], v[52:53], -v[176:177]
	v_add_f64 v[32:33], v[196:197], v[32:33]
	v_mul_f64 v[196:197], v[132:133], s[4:5]
	v_add_f64 v[42:43], v[42:43], v[44:45]
	v_add_f64 v[44:45], v[146:147], v[46:47]
	v_mul_f64 v[46:47], v[116:117], s[36:37]
	v_mul_f64 v[146:147], v[112:113], s[36:37]
	s_delay_alu instid0(VALU_DEP_4) | instskip(NEXT) | instid1(VALU_DEP_4)
	v_add_f64 v[36:37], v[36:37], v[42:43]
	v_add_f64 v[42:43], v[48:49], v[44:45]
	s_delay_alu instid0(VALU_DEP_4)
	v_add_f64 v[46:47], v[46:47], -v[180:181]
	v_mul_f64 v[44:45], v[136:137], s[46:47]
	v_mul_f64 v[48:49], v[104:105], s[14:15]
	v_add_f64 v[34:35], v[34:35], v[36:37]
	v_add_f64 v[36:37], v[52:53], v[42:43]
	v_mul_f64 v[42:43], v[124:125], s[46:47]
	v_add_f64 v[44:45], v[190:191], v[44:45]
	v_mul_f64 v[52:53], v[168:169], s[22:23]
	v_add_f64 v[32:33], v[32:33], v[34:35]
	v_add_f64 v[36:37], v[46:47], v[36:37]
	v_add_f64 v[42:43], v[42:43], -v[186:187]
	v_mul_f64 v[46:47], v[168:169], s[54:55]
	s_delay_alu instid0(VALU_DEP_4) | instskip(SKIP_1) | instid1(VALU_DEP_4)
	v_add_f64 v[34:35], v[44:45], v[32:33]
	v_mul_f64 v[44:45], v[104:105], s[34:35]
	v_add_f64 v[32:33], v[42:43], v[36:37]
	v_fma_f64 v[36:37], v[82:83], s[22:23], v[48:49]
	v_fma_f64 v[42:43], v[88:89], s[34:35], -v[46:47]
	v_fma_f64 v[46:47], v[88:89], s[34:35], v[46:47]
	v_fma_f64 v[48:49], v[82:83], s[4:5], v[48:49]
	s_delay_alu instid0(VALU_DEP_4)
	v_add_f64 v[36:37], v[36:37], v[38:39]
	v_fma_f64 v[38:39], v[88:89], s[14:15], -v[52:53]
	v_add_f64 v[42:43], v[42:43], v[50:51]
	v_mul_f64 v[50:51], v[112:113], s[16:17]
	v_add_f64 v[46:47], v[46:47], v[62:63]
	v_fma_f64 v[62:63], v[124:125], s[14:15], v[196:197]
	v_add_f64 v[48:49], v[48:49], v[144:145]
	v_add_f64 v[38:39], v[38:39], v[40:41]
	v_fma_f64 v[40:41], v[86:87], s[48:49], v[146:147]
	s_delay_alu instid0(VALU_DEP_1) | instskip(SKIP_1) | instid1(VALU_DEP_1)
	v_add_f64 v[36:37], v[40:41], v[36:37]
	v_fma_f64 v[40:41], v[90:91], s[36:37], -v[148:149]
	v_add_f64 v[38:39], v[40:41], v[38:39]
	v_fma_f64 v[40:41], v[92:93], s[44:45], v[150:151]
	s_delay_alu instid0(VALU_DEP_1) | instskip(SKIP_1) | instid1(VALU_DEP_1)
	v_add_f64 v[36:37], v[40:41], v[36:37]
	v_fma_f64 v[40:41], v[94:95], s[20:21], -v[152:153]
	;; [unrolled: 5-line block ×6, first 2 shown]
	v_add_f64 v[36:37], v[36:37], v[40:41]
	v_fma_f64 v[40:41], v[82:83], s[54:55], v[44:45]
	v_fma_f64 v[44:45], v[82:83], s[30:31], v[44:45]
	s_delay_alu instid0(VALU_DEP_2) | instskip(SKIP_1) | instid1(VALU_DEP_3)
	v_add_f64 v[40:41], v[40:41], v[74:75]
	v_fma_f64 v[74:75], v[86:87], s[10:11], v[50:51]
	v_add_f64 v[44:45], v[44:45], v[72:73]
	v_fma_f64 v[50:51], v[86:87], s[40:41], v[50:51]
	s_delay_alu instid0(VALU_DEP_3) | instskip(SKIP_1) | instid1(VALU_DEP_3)
	v_add_f64 v[40:41], v[74:75], v[40:41]
	v_mul_f64 v[74:75], v[100:101], s[10:11]
	v_add_f64 v[44:45], v[50:51], v[44:45]
	s_delay_alu instid0(VALU_DEP_2) | instskip(SKIP_1) | instid1(VALU_DEP_2)
	v_fma_f64 v[176:177], v[90:91], s[16:17], -v[74:75]
	v_fma_f64 v[50:51], v[90:91], s[16:17], v[74:75]
	v_add_f64 v[42:43], v[176:177], v[42:43]
	v_mul_f64 v[176:177], v[120:121], s[46:47]
	s_delay_alu instid0(VALU_DEP_3) | instskip(NEXT) | instid1(VALU_DEP_2)
	v_add_f64 v[46:47], v[50:51], v[46:47]
	v_fma_f64 v[178:179], v[92:93], s[42:43], v[176:177]
	v_fma_f64 v[50:51], v[92:93], s[50:51], v[176:177]
	s_delay_alu instid0(VALU_DEP_2) | instskip(SKIP_1) | instid1(VALU_DEP_3)
	v_add_f64 v[40:41], v[178:179], v[40:41]
	v_mul_f64 v[178:179], v[106:107], s[42:43]
	v_add_f64 v[44:45], v[50:51], v[44:45]
	s_delay_alu instid0(VALU_DEP_2) | instskip(SKIP_1) | instid1(VALU_DEP_2)
	v_fma_f64 v[180:181], v[94:95], s[46:47], -v[178:179]
	v_fma_f64 v[50:51], v[94:95], s[46:47], v[178:179]
	v_add_f64 v[42:43], v[180:181], v[42:43]
	v_mul_f64 v[180:181], v[126:127], s[36:37]
	s_delay_alu instid0(VALU_DEP_3) | instskip(NEXT) | instid1(VALU_DEP_2)
	v_add_f64 v[46:47], v[50:51], v[46:47]
	v_fma_f64 v[182:183], v[96:97], s[48:49], v[180:181]
	v_fma_f64 v[50:51], v[96:97], s[38:39], v[180:181]
	s_delay_alu instid0(VALU_DEP_2) | instskip(SKIP_1) | instid1(VALU_DEP_3)
	;; [unrolled: 13-line block ×4, first 2 shown]
	v_add_f64 v[40:41], v[190:191], v[40:41]
	v_mul_f64 v[190:191], v[128:129], s[24:25]
	v_add_f64 v[44:45], v[50:51], v[44:45]
	s_delay_alu instid0(VALU_DEP_2) | instskip(SKIP_1) | instid1(VALU_DEP_2)
	v_fma_f64 v[50:51], v[116:117], s[26:27], v[190:191]
	v_fma_f64 v[192:193], v[116:117], s[26:27], -v[190:191]
	v_add_f64 v[50:51], v[50:51], v[46:47]
	v_fma_f64 v[46:47], v[118:119], s[22:23], v[194:195]
	s_delay_alu instid0(VALU_DEP_3) | instskip(SKIP_1) | instid1(VALU_DEP_3)
	v_add_f64 v[192:193], v[192:193], v[42:43]
	v_fma_f64 v[42:43], v[118:119], s[4:5], v[194:195]
	v_add_f64 v[46:47], v[46:47], v[44:45]
	v_add_f64 v[44:45], v[62:63], v[50:51]
	v_fma_f64 v[50:51], v[88:89], s[14:15], v[52:53]
	v_fma_f64 v[52:53], v[86:87], s[38:39], v[146:147]
	;; [unrolled: 1-line block ×3, first 2 shown]
	v_add_f64 v[42:43], v[42:43], v[40:41]
	v_fma_f64 v[40:41], v[124:125], s[14:15], -v[196:197]
	v_add_f64 v[50:51], v[50:51], v[64:65]
	v_add_f64 v[48:49], v[52:53], v[48:49]
	v_fma_f64 v[52:53], v[90:91], s[36:37], v[148:149]
	s_delay_alu instid0(VALU_DEP_4) | instskip(NEXT) | instid1(VALU_DEP_2)
	v_add_f64 v[40:41], v[40:41], v[192:193]
	v_add_f64 v[50:51], v[52:53], v[50:51]
	v_fma_f64 v[52:53], v[92:93], s[12:13], v[150:151]
	s_delay_alu instid0(VALU_DEP_1) | instskip(SKIP_1) | instid1(VALU_DEP_1)
	v_add_f64 v[48:49], v[52:53], v[48:49]
	v_fma_f64 v[52:53], v[94:95], s[20:21], v[152:153]
	v_add_f64 v[50:51], v[52:53], v[50:51]
	v_fma_f64 v[52:53], v[96:97], s[10:11], v[154:155]
	s_delay_alu instid0(VALU_DEP_1) | instskip(SKIP_1) | instid1(VALU_DEP_1)
	v_add_f64 v[48:49], v[52:53], v[48:49]
	v_fma_f64 v[52:53], v[98:99], s[16:17], v[156:157]
	;; [unrolled: 5-line block ×4, first 2 shown]
	v_add_f64 v[52:53], v[52:53], v[50:51]
	v_fma_f64 v[50:51], v[118:119], s[30:31], v[172:173]
	s_delay_alu instid0(VALU_DEP_1) | instskip(NEXT) | instid1(VALU_DEP_3)
	v_add_f64 v[50:51], v[50:51], v[48:49]
	v_add_f64 v[48:49], v[62:63], v[52:53]
	v_fma_f64 v[52:53], v[82:83], s[42:43], v[54:55]
	v_fma_f64 v[54:55], v[88:89], s[46:47], v[58:59]
	;; [unrolled: 1-line block ×4, first 2 shown]
	v_mul_f64 v[62:63], v[168:169], s[10:11]
	v_add_f64 v[52:53], v[52:53], v[162:163]
	v_add_f64 v[54:55], v[54:55], v[66:67]
	s_delay_alu instid0(VALU_DEP_3) | instskip(SKIP_1) | instid1(VALU_DEP_4)
	v_fma_f64 v[64:65], v[88:89], s[16:17], -v[62:63]
	v_fma_f64 v[62:63], v[88:89], s[16:17], v[62:63]
	v_add_f64 v[52:53], v[58:59], v[52:53]
	v_fma_f64 v[58:59], v[90:91], s[18:19], v[239:240]
	s_delay_alu instid0(VALU_DEP_4)
	v_add_f64 v[56:57], v[64:65], v[56:57]
	v_mul_f64 v[64:65], v[112:113], s[46:47]
	v_add_f64 v[62:63], v[62:63], v[70:71]
	v_fma_f64 v[70:71], v[86:87], s[54:55], v[215:216]
	v_add_f64 v[54:55], v[58:59], v[54:55]
	v_fma_f64 v[58:59], v[92:93], s[4:5], v[241:242]
	v_fma_f64 v[66:67], v[86:87], s[50:51], v[64:65]
	;; [unrolled: 1-line block ×3, first 2 shown]
	s_delay_alu instid0(VALU_DEP_3) | instskip(SKIP_1) | instid1(VALU_DEP_1)
	v_add_f64 v[52:53], v[58:59], v[52:53]
	v_fma_f64 v[58:59], v[94:95], s[14:15], v[243:244]
	v_add_f64 v[54:55], v[58:59], v[54:55]
	v_fma_f64 v[58:59], v[96:97], s[56:57], v[245:246]
	s_delay_alu instid0(VALU_DEP_1) | instskip(SKIP_1) | instid1(VALU_DEP_1)
	v_add_f64 v[52:53], v[58:59], v[52:53]
	v_fma_f64 v[58:59], v[98:99], s[26:27], v[247:248]
	v_add_f64 v[54:55], v[58:59], v[54:55]
	v_fma_f64 v[58:59], v[102:103], s[38:39], v[249:250]
	s_delay_alu instid0(VALU_DEP_1) | instskip(SKIP_1) | instid1(VALU_DEP_1)
	;; [unrolled: 5-line block ×3, first 2 shown]
	v_add_f64 v[52:53], v[58:59], v[52:53]
	v_fma_f64 v[58:59], v[116:117], s[16:17], v[204:205]
	v_add_f64 v[58:59], v[58:59], v[54:55]
	v_fma_f64 v[54:55], v[118:119], s[12:13], v[84:85]
	s_delay_alu instid0(VALU_DEP_1) | instskip(NEXT) | instid1(VALU_DEP_3)
	v_add_f64 v[54:55], v[54:55], v[52:53]
	v_add_f64 v[52:53], v[60:61], v[58:59]
	v_mul_f64 v[60:61], v[104:105], s[16:17]
	s_delay_alu instid0(VALU_DEP_1) | instskip(SKIP_1) | instid1(VALU_DEP_2)
	v_fma_f64 v[58:59], v[82:83], s[10:11], v[60:61]
	v_fma_f64 v[60:61], v[82:83], s[40:41], v[60:61]
	v_add_f64 v[58:59], v[58:59], v[170:171]
	s_delay_alu instid0(VALU_DEP_1) | instskip(SKIP_1) | instid1(VALU_DEP_1)
	v_add_f64 v[58:59], v[66:67], v[58:59]
	v_mul_f64 v[66:67], v[100:101], s[50:51]
	v_fma_f64 v[72:73], v[90:91], s[46:47], -v[66:67]
	s_delay_alu instid0(VALU_DEP_1) | instskip(SKIP_1) | instid1(VALU_DEP_1)
	v_add_f64 v[56:57], v[72:73], v[56:57]
	v_mul_f64 v[72:73], v[120:121], s[18:19]
	v_fma_f64 v[74:75], v[92:93], s[28:29], v[72:73]
	s_delay_alu instid0(VALU_DEP_1) | instskip(SKIP_1) | instid1(VALU_DEP_1)
	v_add_f64 v[58:59], v[74:75], v[58:59]
	v_mul_f64 v[74:75], v[106:107], s[28:29]
	v_fma_f64 v[84:85], v[94:95], s[18:19], -v[74:75]
	s_delay_alu instid0(VALU_DEP_1) | instskip(SKIP_1) | instid1(VALU_DEP_1)
	v_add_f64 v[56:57], v[84:85], v[56:57]
	v_mul_f64 v[84:85], v[126:127], s[20:21]
	v_fma_f64 v[100:101], v[96:97], s[12:13], v[84:85]
	;; [unrolled: 8-line block ×3, first 2 shown]
	s_delay_alu instid0(VALU_DEP_1) | instskip(SKIP_2) | instid1(VALU_DEP_2)
	v_add_f64 v[58:59], v[106:107], v[58:59]
	v_mul_f64 v[106:107], v[122:123], s[22:23]
	v_mul_f64 v[122:123], v[132:133], s[38:39]
	v_fma_f64 v[112:113], v[108:109], s[14:15], -v[106:107]
	s_delay_alu instid0(VALU_DEP_1) | instskip(SKIP_1) | instid1(VALU_DEP_1)
	v_add_f64 v[56:57], v[112:113], v[56:57]
	v_mul_f64 v[112:113], v[134:135], s[34:35]
	v_fma_f64 v[114:115], v[110:111], s[54:55], v[112:113]
	s_delay_alu instid0(VALU_DEP_1) | instskip(SKIP_1) | instid1(VALU_DEP_1)
	v_add_f64 v[58:59], v[114:115], v[58:59]
	v_mul_f64 v[114:115], v[128:129], s[54:55]
	v_fma_f64 v[120:121], v[116:117], s[34:35], -v[114:115]
	s_delay_alu instid0(VALU_DEP_1) | instskip(SKIP_1) | instid1(VALU_DEP_1)
	v_add_f64 v[56:57], v[120:121], v[56:57]
	v_mul_f64 v[120:121], v[136:137], s[36:37]
	v_fma_f64 v[126:127], v[118:119], s[38:39], v[120:121]
	s_delay_alu instid0(VALU_DEP_1) | instskip(SKIP_1) | instid1(VALU_DEP_1)
	v_add_f64 v[58:59], v[126:127], v[58:59]
	v_fma_f64 v[126:127], v[124:125], s[36:37], -v[122:123]
	v_add_f64 v[56:57], v[126:127], v[56:57]
	scratch_load_b64 v[126:127], off, off offset:8 ; 8-byte Folded Reload
	s_waitcnt vmcnt(0)
	v_add_f64 v[60:61], v[60:61], v[126:127]
	s_delay_alu instid0(VALU_DEP_1) | instskip(SKIP_2) | instid1(VALU_DEP_2)
	v_add_f64 v[60:61], v[64:65], v[60:61]
	v_fma_f64 v[64:65], v[90:91], s[46:47], v[66:67]
	v_fma_f64 v[66:67], v[124:125], s[36:37], v[122:123]
	v_add_f64 v[62:63], v[64:65], v[62:63]
	v_fma_f64 v[64:65], v[92:93], s[52:53], v[72:73]
	scratch_load_b64 v[72:73], off, off     ; 8-byte Folded Reload
	v_add_f64 v[60:61], v[64:65], v[60:61]
	v_fma_f64 v[64:65], v[94:95], s[18:19], v[74:75]
	s_delay_alu instid0(VALU_DEP_1) | instskip(SKIP_1) | instid1(VALU_DEP_1)
	v_add_f64 v[62:63], v[64:65], v[62:63]
	v_fma_f64 v[64:65], v[96:97], s[44:45], v[84:85]
	v_add_f64 v[60:61], v[64:65], v[60:61]
	v_fma_f64 v[64:65], v[98:99], s[20:21], v[100:101]
	s_delay_alu instid0(VALU_DEP_1) | instskip(SKIP_1) | instid1(VALU_DEP_1)
	v_add_f64 v[62:63], v[64:65], v[62:63]
	v_fma_f64 v[64:65], v[102:103], s[4:5], v[104:105]
	;; [unrolled: 5-line block ×4, first 2 shown]
	v_add_f64 v[62:63], v[62:63], v[60:61]
	s_delay_alu instid0(VALU_DEP_3) | instskip(SKIP_3) | instid1(VALU_DEP_2)
	v_add_f64 v[60:61], v[66:67], v[64:65]
	v_fma_f64 v[64:65], v[82:83], s[24:25], v[208:209]
	v_fma_f64 v[66:67], v[88:89], s[26:27], v[213:214]
	s_waitcnt vmcnt(0)
	v_add_f64 v[64:65], v[64:65], v[72:73]
	v_fma_f64 v[72:73], v[90:91], s[34:35], v[217:218]
	s_delay_alu instid0(VALU_DEP_3) | instskip(SKIP_1) | instid1(VALU_DEP_4)
	v_add_f64 v[66:67], v[66:67], v[68:69]
	v_fma_f64 v[68:69], v[92:93], s[40:41], v[219:220]
	v_add_f64 v[64:65], v[70:71], v[64:65]
	v_fma_f64 v[70:71], v[94:95], s[16:17], v[221:222]
	s_delay_alu instid0(VALU_DEP_4) | instskip(SKIP_1) | instid1(VALU_DEP_4)
	v_add_f64 v[66:67], v[72:73], v[66:67]
	v_fma_f64 v[72:73], v[96:97], s[22:23], v[223:224]
	v_add_f64 v[64:65], v[68:69], v[64:65]
	v_fma_f64 v[68:69], v[98:99], s[14:15], v[225:226]
	s_delay_alu instid0(VALU_DEP_4) | instskip(SKIP_1) | instid1(VALU_DEP_4)
	;; [unrolled: 5-line block ×4, first 2 shown]
	v_add_f64 v[66:67], v[72:73], v[66:67]
	v_fma_f64 v[72:73], v[118:119], s[52:53], v[235:236]
	v_add_f64 v[64:65], v[68:69], v[64:65]
	v_fma_f64 v[68:69], v[124:125], s[18:19], v[237:238]
	s_delay_alu instid0(VALU_DEP_4) | instskip(NEXT) | instid1(VALU_DEP_3)
	v_add_f64 v[70:71], v[70:71], v[66:67]
	v_add_f64 v[66:67], v[72:73], v[64:65]
	s_delay_alu instid0(VALU_DEP_2) | instskip(SKIP_1) | instid1(VALU_DEP_1)
	v_add_f64 v[64:65], v[68:69], v[70:71]
	v_mul_u32_u24_e32 v68, 0x110, v78
	v_add3_u32 v68, 0, v68, v212
	ds_store_b128 v68, v[8:11]
	ds_store_b128 v68, v[20:23] offset:16
	ds_store_b128 v68, v[56:59] offset:32
	;; [unrolled: 1-line block ×16, first 2 shown]
.LBB0_22:
	s_or_b32 exec_lo, exec_lo, s33
	s_waitcnt lgkmcnt(0)
	s_waitcnt_vscnt null, 0x0
	s_barrier
	buffer_gl0_inv
	ds_load_b128 v[8:11], v211
	ds_load_b128 v[12:15], v79 offset:544
	ds_load_b128 v[36:39], v79 offset:3536
	;; [unrolled: 1-line block ×11, first 2 shown]
	s_and_saveexec_b32 s1, s0
	s_cbranch_execz .LBB0_24
; %bb.23:
	ds_load_b128 v[0:3], v79 offset:3264
	ds_load_b128 v[4:7], v79 offset:6800
.LBB0_24:
	s_or_b32 exec_lo, exec_lo, s1
	v_add_nc_u16 v58, v78, 34
	v_add_nc_u16 v59, v78, 0x44
	v_mov_b32_e32 v87, 0
	v_add_nc_u16 v60, v78, 0x66
	v_add_nc_u16 v61, v78, 0x88
	v_and_b32_e32 v62, 0xff, v58
	v_and_b32_e32 v64, 0xff, v59
	v_add_nc_u16 v63, v78, 0xaa
	v_and_b32_e32 v65, 0xff, v60
	v_and_b32_e32 v66, 0xff, v61
	v_mul_lo_u16 v62, 0xf1, v62
	v_mul_lo_u16 v64, 0xf1, v64
	v_and_b32_e32 v67, 0xff, v63
	v_subrev_nc_u32_e32 v56, 17, v78
	s_delay_alu instid0(VALU_DEP_4)
	v_lshrrev_b16 v99, 12, v62
	v_mul_lo_u16 v62, 0xf1, v65
	v_lshrrev_b16 v100, 12, v64
	v_mul_lo_u16 v64, 0xf1, v66
	v_mul_lo_u16 v65, 0xf1, v67
	v_cndmask_b32_e64 v86, v56, v78, s0
	v_mul_lo_u16 v66, v99, 17
	v_lshrrev_b16 v101, 12, v62
	v_mul_lo_u16 v62, v100, 17
	v_lshrrev_b16 v102, 12, v64
	v_lshrrev_b16 v103, 12, v65
	v_lshlrev_b64 v[56:57], 4, v[86:87]
	v_sub_nc_u16 v58, v58, v66
	v_mul_lo_u16 v64, v101, 17
	v_sub_nc_u16 v59, v59, v62
	v_mul_lo_u16 v62, v102, 17
	v_mul_lo_u16 v65, v103, 17
	v_and_b32_e32 v58, 0xff, v58
	v_sub_nc_u16 v60, v60, v64
	v_add_co_u32 v56, s1, s8, v56
	v_and_b32_e32 v59, 0xff, v59
	v_sub_nc_u16 v61, v61, v62
	v_add_co_ci_u32_e64 v57, s1, s9, v57, s1
	v_sub_nc_u16 v62, v63, v65
	v_lshlrev_b32_e32 v104, 4, v58
	v_and_b32_e32 v60, 0xff, v60
	v_lshlrev_b32_e32 v105, 4, v59
	v_and_b32_e32 v64, 0xff, v61
	v_and_b32_e32 v68, 0xff, v62
	global_load_b128 v[56:59], v[56:57], off
	v_lshlrev_b32_e32 v106, 4, v60
	global_load_b128 v[60:63], v104, s[8:9]
	v_lshlrev_b32_e32 v107, 4, v64
	global_load_b128 v[64:67], v105, s[8:9]
	v_lshlrev_b32_e32 v108, 4, v68
	s_clause 0x2
	global_load_b128 v[68:71], v106, s[8:9]
	global_load_b128 v[72:75], v107, s[8:9]
	global_load_b128 v[82:85], v108, s[8:9]
	v_cmp_lt_u32_e64 s1, 16, v78
	s_waitcnt vmcnt(0) lgkmcnt(0)
	s_barrier
	buffer_gl0_inv
	v_mul_f64 v[87:88], v[38:39], v[58:59]
	v_mul_f64 v[58:59], v[36:37], v[58:59]
	;; [unrolled: 1-line block ×12, first 2 shown]
	v_fma_f64 v[36:37], v[36:37], v[56:57], -v[87:88]
	v_fma_f64 v[38:39], v[38:39], v[56:57], v[58:59]
	v_fma_f64 v[56:57], v[32:33], v[60:61], -v[89:90]
	v_fma_f64 v[58:59], v[34:35], v[60:61], v[62:63]
	;; [unrolled: 2-line block ×6, first 2 shown]
	v_add_f64 v[32:33], v[8:9], -v[36:37]
	v_add_f64 v[34:35], v[10:11], -v[38:39]
	;; [unrolled: 1-line block ×12, first 2 shown]
	v_cndmask_b32_e64 v56, 0, 0x220, s1
	v_lshlrev_b32_e32 v57, 4, v86
	v_and_b32_e32 v58, 0xffff, v100
	v_and_b32_e32 v59, 0xffff, v101
	v_and_b32_e32 v60, 0xffff, v102
	v_add_nc_u32_e32 v56, 0, v56
	v_and_b32_e32 v61, 0xffff, v103
	v_mad_u32_u24 v58, 0x220, v58, 0
	v_mad_u32_u24 v59, 0x220, v59, 0
	;; [unrolled: 1-line block ×3, first 2 shown]
	v_add3_u32 v56, v56, v57, v212
	v_and_b32_e32 v57, 0xffff, v99
	v_mad_u32_u24 v61, 0x220, v61, 0
	v_add3_u32 v58, v58, v105, v212
	v_add3_u32 v59, v59, v106, v212
	;; [unrolled: 1-line block ×3, first 2 shown]
	v_mad_u32_u24 v57, 0x220, v57, 0
	v_add3_u32 v61, v61, v108, v212
	s_delay_alu instid0(VALU_DEP_2)
	v_add3_u32 v57, v57, v104, v212
	v_fma_f64 v[8:9], v[8:9], 2.0, -v[32:33]
	v_fma_f64 v[10:11], v[10:11], 2.0, -v[34:35]
	;; [unrolled: 1-line block ×12, first 2 shown]
	ds_store_b128 v56, v[8:11]
	ds_store_b128 v56, v[32:35] offset:272
	ds_store_b128 v57, v[12:15]
	ds_store_b128 v57, v[36:39] offset:272
	;; [unrolled: 2-line block ×6, first 2 shown]
	s_and_saveexec_b32 s1, s0
	s_cbranch_execz .LBB0_26
; %bb.25:
	v_add_nc_u16 v8, v78, 0xcc
	s_delay_alu instid0(VALU_DEP_1) | instskip(NEXT) | instid1(VALU_DEP_1)
	v_and_b32_e32 v9, 0xff, v8
	v_mul_lo_u16 v9, 0xf1, v9
	s_delay_alu instid0(VALU_DEP_1) | instskip(NEXT) | instid1(VALU_DEP_1)
	v_lshrrev_b16 v9, 12, v9
	v_mul_lo_u16 v9, v9, 17
	s_delay_alu instid0(VALU_DEP_1) | instskip(NEXT) | instid1(VALU_DEP_1)
	v_sub_nc_u16 v8, v8, v9
	v_and_b32_e32 v8, 0xff, v8
	s_delay_alu instid0(VALU_DEP_1) | instskip(SKIP_4) | instid1(VALU_DEP_2)
	v_lshlrev_b32_e32 v14, 4, v8
	global_load_b128 v[8:11], v14, s[8:9]
	s_waitcnt vmcnt(0)
	v_mul_f64 v[12:13], v[4:5], v[10:11]
	v_mul_f64 v[10:11], v[6:7], v[10:11]
	v_fma_f64 v[6:7], v[6:7], v[8:9], v[12:13]
	s_delay_alu instid0(VALU_DEP_2) | instskip(SKIP_1) | instid1(VALU_DEP_3)
	v_fma_f64 v[4:5], v[4:5], v[8:9], -v[10:11]
	v_add3_u32 v8, 0, v14, v212
	v_add_f64 v[6:7], v[2:3], -v[6:7]
	s_delay_alu instid0(VALU_DEP_3) | instskip(NEXT) | instid1(VALU_DEP_2)
	v_add_f64 v[4:5], v[0:1], -v[4:5]
	v_fma_f64 v[2:3], v[2:3], 2.0, -v[6:7]
	s_delay_alu instid0(VALU_DEP_2)
	v_fma_f64 v[0:1], v[0:1], 2.0, -v[4:5]
	ds_store_b128 v8, v[0:3] offset:6528
	ds_store_b128 v8, v[4:7] offset:6800
.LBB0_26:
	s_or_b32 exec_lo, exec_lo, s1
	v_mul_u32_u24_e32 v0, 12, v78
	s_waitcnt lgkmcnt(0)
	s_barrier
	buffer_gl0_inv
	s_mov_b32 s22, 0x42a4c3d2
	v_lshlrev_b32_e32 v30, 4, v0
	s_mov_b32 s24, 0x66966769
	s_mov_b32 s16, 0x2ef20147
	;; [unrolled: 1-line block ×4, first 2 shown]
	s_clause 0x4
	global_load_b128 v[0:3], v30, s[8:9] offset:272
	global_load_b128 v[16:19], v30, s[8:9] offset:448
	;; [unrolled: 1-line block ×5, first 2 shown]
	ds_load_b128 v[20:23], v79 offset:544
	ds_load_b128 v[24:27], v79 offset:6528
	ds_load_b128 v[56:59], v211
	s_mov_b32 s19, 0xbfddbe06
	s_mov_b32 s18, 0x4267c47c
	s_mov_b32 s23, 0xbfea55e2
	s_mov_b32 s25, 0xbfefc445
	s_mov_b32 s17, 0xbfedeba7
	s_mov_b32 s21, 0xbfe5384d
	s_mov_b32 s27, 0xbfcea1e5
	s_mov_b32 s14, 0xe00740e9
	s_mov_b32 s10, 0x1ea71119
	s_mov_b32 s12, 0xebaa3ed8
	s_mov_b32 s4, 0xd0032e0c
	s_mov_b32 s0, 0x93053d00
	s_mov_b32 s15, 0x3fec55a7
	s_mov_b32 s11, 0x3fe22d96
	s_mov_b32 s13, 0x3fbedb7d
	s_mov_b32 s5, 0xbfe7f3cc
	s_mov_b32 s1, 0xbfef11f4
	s_mov_b32 s31, 0x3fe5384d
	s_mov_b32 s30, s20
	s_mov_b32 s29, 0x3fefc445
	s_mov_b32 s28, s24
	s_mov_b32 s35, 0x3fedeba7
	s_mov_b32 s34, s16
	s_waitcnt vmcnt(4) lgkmcnt(2)
	v_mul_f64 v[28:29], v[22:23], v[2:3]
	v_mul_f64 v[2:3], v[20:21], v[2:3]
	s_waitcnt vmcnt(3) lgkmcnt(1)
	v_mul_f64 v[35:36], v[24:25], v[18:19]
	v_mul_f64 v[37:38], v[26:27], v[18:19]
	s_delay_alu instid0(VALU_DEP_4)
	v_fma_f64 v[60:61], v[20:21], v[0:1], -v[28:29]
	ds_load_b128 v[18:21], v79 offset:1088
	ds_load_b128 v[31:34], v79 offset:1632
	v_fma_f64 v[62:63], v[22:23], v[0:1], v[2:3]
	v_fma_f64 v[0:1], v[26:27], v[16:17], v[35:36]
	v_fma_f64 v[2:3], v[24:25], v[16:17], -v[37:38]
	ds_load_b128 v[22:25], v79 offset:5984
	ds_load_b128 v[26:29], v79 offset:5440
	s_waitcnt vmcnt(2) lgkmcnt(3)
	v_mul_f64 v[16:17], v[20:21], v[10:11]
	v_mul_f64 v[10:11], v[18:19], v[10:11]
	v_add_f64 v[94:95], v[62:63], v[0:1]
	v_add_f64 v[64:65], v[60:61], v[2:3]
	s_delay_alu instid0(VALU_DEP_4) | instskip(NEXT) | instid1(VALU_DEP_4)
	v_fma_f64 v[16:17], v[18:19], v[8:9], -v[16:17]
	v_fma_f64 v[18:19], v[20:21], v[8:9], v[10:11]
	s_waitcnt vmcnt(1) lgkmcnt(1)
	v_mul_f64 v[8:9], v[22:23], v[14:15]
	v_mul_f64 v[10:11], v[24:25], v[14:15]
	s_delay_alu instid0(VALU_DEP_2) | instskip(NEXT) | instid1(VALU_DEP_2)
	v_fma_f64 v[8:9], v[24:25], v[12:13], v[8:9]
	v_fma_f64 v[10:11], v[22:23], v[12:13], -v[10:11]
	s_waitcnt vmcnt(0)
	v_mul_f64 v[12:13], v[33:34], v[6:7]
	v_mul_f64 v[6:7], v[31:32], v[6:7]
	global_load_b128 v[20:23], v30, s[8:9] offset:320
	v_add_f64 v[128:129], v[16:17], -v[10:11]
	v_fma_f64 v[12:13], v[31:32], v[4:5], -v[12:13]
	v_fma_f64 v[14:15], v[33:34], v[4:5], v[6:7]
	s_clause 0x1
	global_load_b128 v[31:34], v30, s[8:9] offset:416
	global_load_b128 v[35:38], v30, s[8:9] offset:400
	v_mul_f64 v[180:181], v[128:129], s[16:17]
	v_mul_f64 v[200:201], v[128:129], s[26:27]
	;; [unrolled: 1-line block ×3, first 2 shown]
	s_waitcnt vmcnt(1) lgkmcnt(0)
	v_mul_f64 v[4:5], v[28:29], v[33:34]
	v_mul_f64 v[6:7], v[26:27], v[33:34]
	s_delay_alu instid0(VALU_DEP_2) | instskip(NEXT) | instid1(VALU_DEP_2)
	v_fma_f64 v[4:5], v[26:27], v[31:32], -v[4:5]
	v_fma_f64 v[6:7], v[28:29], v[31:32], v[6:7]
	ds_load_b128 v[26:29], v79 offset:2176
	ds_load_b128 v[31:34], v79 offset:2720
	;; [unrolled: 1-line block ×4, first 2 shown]
	s_waitcnt lgkmcnt(3)
	v_mul_f64 v[24:25], v[28:29], v[22:23]
	v_mul_f64 v[22:23], v[26:27], v[22:23]
	v_add_f64 v[132:133], v[12:13], v[4:5]
	v_add_f64 v[130:131], v[14:15], -v[6:7]
	v_add_f64 v[136:137], v[12:13], -v[4:5]
	v_add_f64 v[138:139], v[14:15], v[6:7]
	v_fma_f64 v[24:25], v[26:27], v[20:21], -v[24:25]
	v_fma_f64 v[26:27], v[28:29], v[20:21], v[22:23]
	s_waitcnt vmcnt(0) lgkmcnt(1)
	v_mul_f64 v[20:21], v[41:42], v[37:38]
	v_mul_f64 v[22:23], v[39:40], v[37:38]
	;; [unrolled: 1-line block ×8, first 2 shown]
	v_fma_f64 v[20:21], v[39:40], v[35:36], -v[20:21]
	v_fma_f64 v[22:23], v[41:42], v[35:36], v[22:23]
	s_clause 0x1
	global_load_b128 v[35:38], v30, s[8:9] offset:336
	global_load_b128 v[39:42], v30, s[8:9] offset:352
	v_add_f64 v[144:145], v[24:25], v[20:21]
	v_add_f64 v[142:143], v[26:27], -v[22:23]
	v_add_f64 v[148:149], v[24:25], -v[20:21]
	v_add_f64 v[150:151], v[26:27], v[22:23]
	s_delay_alu instid0(VALU_DEP_3) | instskip(NEXT) | instid1(VALU_DEP_3)
	v_mul_f64 v[146:147], v[142:143], s[16:17]
	v_mul_f64 v[152:153], v[148:149], s[16:17]
	;; [unrolled: 1-line block ×6, first 2 shown]
	s_waitcnt vmcnt(1)
	v_mul_f64 v[28:29], v[33:34], v[37:38]
	s_delay_alu instid0(VALU_DEP_1) | instskip(SKIP_1) | instid1(VALU_DEP_1)
	v_fma_f64 v[28:29], v[31:32], v[35:36], -v[28:29]
	v_mul_f64 v[31:32], v[31:32], v[37:38]
	v_fma_f64 v[32:33], v[33:34], v[35:36], v[31:32]
	s_clause 0x1
	global_load_b128 v[34:37], v30, s[8:9] offset:384
	global_load_b128 v[47:50], v30, s[8:9] offset:368
	s_mov_b32 s8, 0xb2365da1
	s_mov_b32 s9, 0xbfd6b1d8
	s_waitcnt vmcnt(1) lgkmcnt(0)
	v_mul_f64 v[30:31], v[45:46], v[36:37]
	v_mul_f64 v[36:37], v[43:44], v[36:37]
	s_delay_alu instid0(VALU_DEP_2) | instskip(NEXT) | instid1(VALU_DEP_2)
	v_fma_f64 v[30:31], v[43:44], v[34:35], -v[30:31]
	v_fma_f64 v[34:35], v[45:46], v[34:35], v[36:37]
	ds_load_b128 v[43:46], v79 offset:3264
	ds_load_b128 v[51:54], v79 offset:3808
	s_waitcnt vmcnt(0) lgkmcnt(0)
	s_barrier
	buffer_gl0_inv
	v_mul_f64 v[36:37], v[45:46], v[41:42]
	v_mul_f64 v[41:42], v[43:44], v[41:42]
	v_add_f64 v[156:157], v[28:29], v[30:31]
	v_add_f64 v[154:155], v[32:33], -v[34:35]
	v_add_f64 v[160:161], v[28:29], -v[30:31]
	v_add_f64 v[162:163], v[32:33], v[34:35]
	v_fma_f64 v[36:37], v[43:44], v[39:40], -v[36:37]
	v_fma_f64 v[38:39], v[45:46], v[39:40], v[41:42]
	v_mul_f64 v[40:41], v[53:54], v[49:50]
	v_mul_f64 v[42:43], v[51:52], v[49:50]
	v_add_f64 v[44:45], v[62:63], -v[0:1]
	v_mul_f64 v[158:159], v[154:155], s[20:21]
	v_mul_f64 v[164:165], v[160:161], s[20:21]
	;; [unrolled: 1-line block ×6, first 2 shown]
	v_fma_f64 v[40:41], v[51:52], v[47:48], -v[40:41]
	v_fma_f64 v[42:43], v[53:54], v[47:48], v[42:43]
	v_mul_f64 v[46:47], v[44:45], s[18:19]
	v_mul_f64 v[48:49], v[44:45], s[22:23]
	v_mul_f64 v[50:51], v[44:45], s[24:25]
	v_mul_f64 v[52:53], v[44:45], s[16:17]
	v_mul_f64 v[54:55], v[44:45], s[20:21]
	v_mul_f64 v[44:45], v[44:45], s[26:27]
	v_add_f64 v[168:169], v[36:37], v[40:41]
	v_add_f64 v[166:167], v[38:39], -v[42:43]
	v_fma_f64 v[66:67], v[64:65], s[14:15], -v[46:47]
	v_fma_f64 v[68:69], v[64:65], s[14:15], v[46:47]
	v_fma_f64 v[70:71], v[64:65], s[10:11], -v[48:49]
	v_fma_f64 v[72:73], v[64:65], s[10:11], v[48:49]
	v_fma_f64 v[74:75], v[64:65], s[12:13], -v[50:51]
	v_fma_f64 v[82:83], v[64:65], s[12:13], v[50:51]
	v_fma_f64 v[84:85], v[64:65], s[8:9], -v[52:53]
	v_fma_f64 v[86:87], v[64:65], s[8:9], v[52:53]
	v_fma_f64 v[88:89], v[64:65], s[4:5], -v[54:55]
	v_fma_f64 v[90:91], v[64:65], s[4:5], v[54:55]
	v_fma_f64 v[92:93], v[64:65], s[0:1], -v[44:45]
	v_fma_f64 v[64:65], v[64:65], s[0:1], v[44:45]
	v_add_f64 v[44:45], v[60:61], -v[2:3]
	v_add_f64 v[172:173], v[36:37], -v[40:41]
	v_add_f64 v[174:175], v[38:39], v[42:43]
	v_mul_f64 v[170:171], v[166:167], s[26:27]
	v_mul_f64 v[215:216], v[166:167], s[20:21]
	;; [unrolled: 1-line block ×3, first 2 shown]
	v_add_f64 v[118:119], v[56:57], v[88:89]
	v_add_f64 v[120:121], v[56:57], v[90:91]
	;; [unrolled: 1-line block ×4, first 2 shown]
	v_mul_f64 v[46:47], v[44:45], s[18:19]
	v_mul_f64 v[48:49], v[44:45], s[22:23]
	;; [unrolled: 1-line block ×7, first 2 shown]
	s_mov_b32 s19, 0x3fddbe06
	v_mul_f64 v[217:218], v[172:173], s[20:21]
	v_mul_f64 v[194:195], v[166:167], s[18:19]
	;; [unrolled: 1-line block ×6, first 2 shown]
	s_mov_b32 s25, 0x3fea55e2
	s_mov_b32 s24, s22
	v_mul_f64 v[241:242], v[154:155], s[18:19]
	v_mul_f64 v[233:234], v[166:167], s[24:25]
	;; [unrolled: 1-line block ×5, first 2 shown]
	v_fma_f64 v[96:97], v[94:95], s[14:15], v[46:47]
	v_fma_f64 v[98:99], v[94:95], s[14:15], -v[46:47]
	v_fma_f64 v[100:101], v[94:95], s[10:11], v[48:49]
	v_fma_f64 v[102:103], v[94:95], s[10:11], -v[48:49]
	;; [unrolled: 2-line block ×6, first 2 shown]
	v_add_f64 v[44:45], v[56:57], v[60:61]
	v_add_f64 v[46:47], v[58:59], v[62:63]
	;; [unrolled: 1-line block ×6, first 2 shown]
	v_fma_f64 v[82:83], v[132:133], s[0:1], -v[182:183]
	v_add_f64 v[50:51], v[58:59], v[96:97]
	v_add_f64 v[68:69], v[58:59], v[98:99]
	v_add_f64 v[96:97], v[56:57], v[70:71]
	v_add_f64 v[98:99], v[58:59], v[100:101]
	v_add_f64 v[52:53], v[58:59], v[102:103]
	v_add_f64 v[100:101], v[56:57], v[74:75]
	v_add_f64 v[102:103], v[58:59], v[104:105]
	v_add_f64 v[60:61], v[58:59], v[106:107]
	v_add_f64 v[104:105], v[56:57], v[84:85]
	v_add_f64 v[106:107], v[58:59], v[108:109]
	v_add_f64 v[108:109], v[56:57], v[86:87]
	v_add_f64 v[126:127], v[58:59], v[94:95]
	v_add_f64 v[94:95], v[18:19], -v[8:9]
	v_add_f64 v[110:111], v[58:59], v[110:111]
	v_add_f64 v[112:113], v[58:59], v[112:113]
	;; [unrolled: 1-line block ×5, first 2 shown]
	v_fma_f64 v[86:87], v[132:133], s[8:9], -v[202:203]
	v_add_f64 v[16:17], v[44:45], v[16:17]
	v_mul_f64 v[58:59], v[94:95], s[22:23]
	v_mul_f64 v[178:179], v[94:95], s[16:17]
	;; [unrolled: 1-line block ×4, first 2 shown]
	s_mov_b32 s27, 0x3fcea1e5
	s_delay_alu instid0(SALU_CYCLE_1)
	v_mul_f64 v[229:230], v[154:155], s[26:27]
	v_mul_f64 v[231:232], v[160:161], s[26:27]
	;; [unrolled: 1-line block ×4, first 2 shown]
	v_add_f64 v[12:13], v[16:17], v[12:13]
	v_fma_f64 v[64:65], v[56:57], s[10:11], v[58:59]
	s_delay_alu instid0(VALU_DEP_2) | instskip(NEXT) | instid1(VALU_DEP_2)
	v_add_f64 v[12:13], v[12:13], v[24:25]
	v_add_f64 v[70:71], v[64:65], v[66:67]
	;; [unrolled: 1-line block ×3, first 2 shown]
	v_mul_f64 v[66:67], v[128:129], s[22:23]
	v_add_f64 v[18:19], v[46:47], v[18:19]
	v_add_f64 v[12:13], v[12:13], v[28:29]
	s_delay_alu instid0(VALU_DEP_4) | instskip(NEXT) | instid1(VALU_DEP_4)
	v_fma_f64 v[74:75], v[64:65], s[8:9], v[180:181]
	v_fma_f64 v[72:73], v[64:65], s[10:11], -v[66:67]
	v_fma_f64 v[84:85], v[64:65], s[0:1], v[200:201]
	v_fma_f64 v[88:89], v[64:65], s[4:5], v[221:222]
	v_add_f64 v[14:15], v[18:19], v[14:15]
	v_add_f64 v[12:13], v[12:13], v[36:37]
	;; [unrolled: 1-line block ×4, first 2 shown]
	v_fma_f64 v[72:73], v[132:133], s[12:13], v[134:135]
	v_add_f64 v[84:85], v[84:85], v[102:103]
	v_add_f64 v[88:89], v[88:89], v[106:107]
	v_mul_f64 v[106:107], v[130:131], s[18:19]
	v_mul_f64 v[102:103], v[94:95], s[28:29]
	v_mul_f64 v[98:99], v[94:95], s[18:19]
	v_add_f64 v[14:15], v[14:15], v[26:27]
	v_add_f64 v[12:13], v[12:13], v[40:41]
	;; [unrolled: 1-line block ×3, first 2 shown]
	v_fma_f64 v[72:73], v[138:139], s[12:13], -v[140:141]
	v_fma_f64 v[90:91], v[132:133], s[14:15], -v[106:107]
	v_fma_f64 v[106:107], v[132:133], s[14:15], v[106:107]
	v_fma_f64 v[94:95], v[56:57], s[14:15], -v[98:99]
	v_fma_f64 v[98:99], v[56:57], s[14:15], v[98:99]
	v_add_f64 v[14:15], v[14:15], v[32:33]
	v_add_f64 v[12:13], v[12:13], v[30:31]
	;; [unrolled: 1-line block ×3, first 2 shown]
	v_fma_f64 v[72:73], v[144:145], s[8:9], v[146:147]
	v_add_f64 v[94:95], v[94:95], v[122:123]
	v_add_f64 v[98:99], v[98:99], v[124:125]
	;; [unrolled: 1-line block ×5, first 2 shown]
	v_fma_f64 v[72:73], v[150:151], s[8:9], -v[152:153]
	s_delay_alu instid0(VALU_DEP_4) | instskip(NEXT) | instid1(VALU_DEP_4)
	v_add_f64 v[14:15], v[14:15], v[42:43]
	v_add_f64 v[4:5], v[12:13], v[4:5]
	s_delay_alu instid0(VALU_DEP_3) | instskip(SKIP_1) | instid1(VALU_DEP_4)
	v_add_f64 v[68:69], v[72:73], v[68:69]
	v_fma_f64 v[72:73], v[156:157], s[4:5], v[158:159]
	v_add_f64 v[14:15], v[14:15], v[34:35]
	s_delay_alu instid0(VALU_DEP_4) | instskip(NEXT) | instid1(VALU_DEP_3)
	v_add_f64 v[4:5], v[4:5], v[10:11]
	v_add_f64 v[70:71], v[72:73], v[70:71]
	v_fma_f64 v[72:73], v[162:163], s[4:5], -v[164:165]
	s_delay_alu instid0(VALU_DEP_4) | instskip(NEXT) | instid1(VALU_DEP_4)
	v_add_f64 v[14:15], v[14:15], v[22:23]
	v_add_f64 v[2:3], v[4:5], v[2:3]
	s_delay_alu instid0(VALU_DEP_3) | instskip(SKIP_1) | instid1(VALU_DEP_4)
	v_add_f64 v[72:73], v[72:73], v[68:69]
	v_fma_f64 v[68:69], v[168:169], s[0:1], v[170:171]
	v_add_f64 v[6:7], v[14:15], v[6:7]
	s_delay_alu instid0(VALU_DEP_2) | instskip(SKIP_1) | instid1(VALU_DEP_3)
	v_add_f64 v[68:69], v[68:69], v[70:71]
	v_fma_f64 v[70:71], v[174:175], s[0:1], -v[176:177]
	v_add_f64 v[6:7], v[6:7], v[8:9]
	s_delay_alu instid0(VALU_DEP_2) | instskip(SKIP_1) | instid1(VALU_DEP_3)
	v_add_f64 v[70:71], v[70:71], v[72:73]
	v_fma_f64 v[72:73], v[56:57], s[8:9], -v[178:179]
	v_add_f64 v[4:5], v[6:7], v[0:1]
	s_delay_alu instid0(VALU_DEP_2) | instskip(NEXT) | instid1(VALU_DEP_1)
	v_add_f64 v[72:73], v[72:73], v[96:97]
	v_add_f64 v[72:73], v[82:83], v[72:73]
	v_fma_f64 v[82:83], v[138:139], s[0:1], v[184:185]
	s_delay_alu instid0(VALU_DEP_1) | instskip(SKIP_1) | instid1(VALU_DEP_1)
	v_add_f64 v[74:75], v[82:83], v[74:75]
	v_fma_f64 v[82:83], v[144:145], s[4:5], -v[186:187]
	v_add_f64 v[72:73], v[82:83], v[72:73]
	v_fma_f64 v[82:83], v[150:151], s[4:5], v[188:189]
	s_delay_alu instid0(VALU_DEP_1) | instskip(SKIP_1) | instid1(VALU_DEP_1)
	v_add_f64 v[74:75], v[82:83], v[74:75]
	v_fma_f64 v[82:83], v[156:157], s[12:13], -v[190:191]
	v_add_f64 v[72:73], v[82:83], v[72:73]
	v_fma_f64 v[82:83], v[162:163], s[12:13], v[192:193]
	s_delay_alu instid0(VALU_DEP_1) | instskip(SKIP_1) | instid1(VALU_DEP_1)
	v_add_f64 v[74:75], v[82:83], v[74:75]
	v_fma_f64 v[82:83], v[168:169], s[14:15], -v[194:195]
	v_add_f64 v[72:73], v[82:83], v[72:73]
	v_fma_f64 v[82:83], v[174:175], s[14:15], v[196:197]
	s_delay_alu instid0(VALU_DEP_1) | instskip(SKIP_1) | instid1(VALU_DEP_1)
	v_add_f64 v[74:75], v[82:83], v[74:75]
	v_fma_f64 v[82:83], v[56:57], s[0:1], -v[198:199]
	v_add_f64 v[82:83], v[82:83], v[100:101]
	v_mul_f64 v[100:101], v[128:129], s[18:19]
	s_delay_alu instid0(VALU_DEP_2) | instskip(SKIP_1) | instid1(VALU_DEP_1)
	v_add_f64 v[82:83], v[86:87], v[82:83]
	v_fma_f64 v[86:87], v[138:139], s[8:9], v[204:205]
	v_add_f64 v[84:85], v[86:87], v[84:85]
	v_fma_f64 v[86:87], v[144:145], s[14:15], -v[206:207]
	s_delay_alu instid0(VALU_DEP_1) | instskip(SKIP_1) | instid1(VALU_DEP_1)
	v_add_f64 v[82:83], v[86:87], v[82:83]
	v_fma_f64 v[86:87], v[150:151], s[14:15], v[208:209]
	v_add_f64 v[84:85], v[86:87], v[84:85]
	v_fma_f64 v[86:87], v[156:157], s[10:11], -v[211:212]
	s_delay_alu instid0(VALU_DEP_1) | instskip(SKIP_1) | instid1(VALU_DEP_1)
	;; [unrolled: 5-line block ×3, first 2 shown]
	v_add_f64 v[82:83], v[86:87], v[82:83]
	v_fma_f64 v[86:87], v[174:175], s[4:5], v[217:218]
	v_add_f64 v[84:85], v[86:87], v[84:85]
	v_fma_f64 v[86:87], v[56:57], s[4:5], -v[219:220]
	s_delay_alu instid0(VALU_DEP_1) | instskip(SKIP_1) | instid1(VALU_DEP_2)
	v_add_f64 v[86:87], v[86:87], v[104:105]
	v_mul_f64 v[104:105], v[128:129], s[28:29]
	v_add_f64 v[86:87], v[90:91], v[86:87]
	v_fma_f64 v[90:91], v[138:139], s[14:15], v[223:224]
	s_delay_alu instid0(VALU_DEP_3) | instskip(SKIP_1) | instid1(VALU_DEP_3)
	v_fma_f64 v[92:93], v[64:65], s[12:13], v[104:105]
	v_fma_f64 v[104:105], v[64:65], s[12:13], -v[104:105]
	v_add_f64 v[88:89], v[90:91], v[88:89]
	v_fma_f64 v[90:91], v[144:145], s[12:13], -v[225:226]
	s_delay_alu instid0(VALU_DEP_4)
	v_add_f64 v[92:93], v[92:93], v[112:113]
	v_mul_f64 v[112:113], v[130:131], s[22:23]
	v_add_f64 v[104:105], v[104:105], v[114:115]
	v_fma_f64 v[114:115], v[174:175], s[8:9], -v[247:248]
	v_add_f64 v[86:87], v[90:91], v[86:87]
	v_fma_f64 v[90:91], v[150:151], s[12:13], v[227:228]
	v_fma_f64 v[96:97], v[132:133], s[10:11], -v[112:113]
	v_fma_f64 v[112:113], v[132:133], s[10:11], v[112:113]
	s_delay_alu instid0(VALU_DEP_3) | instskip(SKIP_1) | instid1(VALU_DEP_1)
	v_add_f64 v[88:89], v[90:91], v[88:89]
	v_fma_f64 v[90:91], v[156:157], s[0:1], -v[229:230]
	v_add_f64 v[86:87], v[90:91], v[86:87]
	v_fma_f64 v[90:91], v[162:163], s[0:1], v[231:232]
	s_delay_alu instid0(VALU_DEP_1) | instskip(SKIP_1) | instid1(VALU_DEP_1)
	v_add_f64 v[88:89], v[90:91], v[88:89]
	v_fma_f64 v[90:91], v[168:169], s[10:11], -v[233:234]
	v_add_f64 v[86:87], v[90:91], v[86:87]
	v_fma_f64 v[90:91], v[174:175], s[10:11], v[235:236]
	s_delay_alu instid0(VALU_DEP_1) | instskip(SKIP_2) | instid1(VALU_DEP_2)
	v_add_f64 v[88:89], v[90:91], v[88:89]
	v_fma_f64 v[90:91], v[56:57], s[12:13], -v[102:103]
	v_fma_f64 v[102:103], v[56:57], s[12:13], v[102:103]
	v_add_f64 v[90:91], v[90:91], v[118:119]
	v_mul_f64 v[118:119], v[136:137], s[22:23]
	s_delay_alu instid0(VALU_DEP_3) | instskip(NEXT) | instid1(VALU_DEP_3)
	v_add_f64 v[102:103], v[102:103], v[120:121]
	v_add_f64 v[90:91], v[96:97], v[90:91]
	s_delay_alu instid0(VALU_DEP_3) | instskip(NEXT) | instid1(VALU_DEP_3)
	v_fma_f64 v[96:97], v[138:139], s[10:11], v[118:119]
	v_add_f64 v[102:103], v[112:113], v[102:103]
	v_fma_f64 v[112:113], v[138:139], s[10:11], -v[118:119]
	s_delay_alu instid0(VALU_DEP_3) | instskip(SKIP_1) | instid1(VALU_DEP_3)
	v_add_f64 v[92:93], v[96:97], v[92:93]
	v_fma_f64 v[96:97], v[144:145], s[0:1], -v[237:238]
	v_add_f64 v[104:105], v[112:113], v[104:105]
	v_fma_f64 v[112:113], v[144:145], s[0:1], v[237:238]
	s_delay_alu instid0(VALU_DEP_3) | instskip(SKIP_1) | instid1(VALU_DEP_3)
	v_add_f64 v[90:91], v[96:97], v[90:91]
	v_fma_f64 v[96:97], v[150:151], s[0:1], v[239:240]
	v_add_f64 v[102:103], v[112:113], v[102:103]
	v_fma_f64 v[112:113], v[150:151], s[0:1], -v[239:240]
	s_delay_alu instid0(VALU_DEP_3) | instskip(SKIP_1) | instid1(VALU_DEP_3)
	v_add_f64 v[92:93], v[96:97], v[92:93]
	v_fma_f64 v[96:97], v[156:157], s[14:15], -v[241:242]
	v_add_f64 v[104:105], v[112:113], v[104:105]
	v_fma_f64 v[112:113], v[156:157], s[14:15], v[241:242]
	s_delay_alu instid0(VALU_DEP_3) | instskip(SKIP_1) | instid1(VALU_DEP_3)
	v_add_f64 v[90:91], v[96:97], v[90:91]
	;; [unrolled: 10-line block ×3, first 2 shown]
	v_fma_f64 v[96:97], v[174:175], s[8:9], v[247:248]
	v_add_f64 v[102:103], v[112:113], v[102:103]
	v_fma_f64 v[112:113], v[56:57], s[4:5], v[219:220]
	v_add_f64 v[104:105], v[114:115], v[104:105]
	s_delay_alu instid0(VALU_DEP_4) | instskip(SKIP_1) | instid1(VALU_DEP_4)
	v_add_f64 v[92:93], v[96:97], v[92:93]
	v_fma_f64 v[96:97], v[64:65], s[14:15], v[100:101]
	v_add_f64 v[108:109], v[112:113], v[108:109]
	v_fma_f64 v[112:113], v[64:65], s[4:5], -v[221:222]
	v_fma_f64 v[100:101], v[64:65], s[14:15], -v[100:101]
	s_delay_alu instid0(VALU_DEP_4) | instskip(NEXT) | instid1(VALU_DEP_4)
	v_add_f64 v[96:97], v[96:97], v[116:117]
	v_add_f64 v[106:107], v[106:107], v[108:109]
	s_delay_alu instid0(VALU_DEP_4) | instskip(SKIP_4) | instid1(VALU_DEP_4)
	v_add_f64 v[110:111], v[112:113], v[110:111]
	v_fma_f64 v[108:109], v[138:139], s[14:15], -v[223:224]
	v_mul_f64 v[116:117], v[130:131], s[20:21]
	v_fma_f64 v[112:113], v[174:175], s[10:11], -v[235:236]
	v_add_f64 v[100:101], v[100:101], v[126:127]
	v_add_f64 v[108:109], v[108:109], v[110:111]
	v_fma_f64 v[110:111], v[144:145], s[12:13], v[225:226]
	v_fma_f64 v[122:123], v[132:133], s[4:5], -v[116:117]
	v_fma_f64 v[116:117], v[132:133], s[4:5], v[116:117]
	s_delay_alu instid0(VALU_DEP_3) | instskip(SKIP_1) | instid1(VALU_DEP_4)
	v_add_f64 v[106:107], v[110:111], v[106:107]
	v_fma_f64 v[110:111], v[150:151], s[12:13], -v[227:228]
	v_add_f64 v[94:95], v[122:123], v[94:95]
	v_mul_f64 v[122:123], v[136:137], s[20:21]
	v_add_f64 v[98:99], v[116:117], v[98:99]
	s_delay_alu instid0(VALU_DEP_4) | instskip(SKIP_1) | instid1(VALU_DEP_4)
	v_add_f64 v[108:109], v[110:111], v[108:109]
	v_fma_f64 v[110:111], v[156:157], s[0:1], v[229:230]
	v_fma_f64 v[128:129], v[138:139], s[4:5], v[122:123]
	v_fma_f64 v[116:117], v[138:139], s[4:5], -v[122:123]
	s_delay_alu instid0(VALU_DEP_3) | instskip(SKIP_1) | instid1(VALU_DEP_4)
	v_add_f64 v[106:107], v[110:111], v[106:107]
	v_fma_f64 v[110:111], v[162:163], s[0:1], -v[231:232]
	v_add_f64 v[96:97], v[128:129], v[96:97]
	v_mul_f64 v[128:129], v[142:143], s[24:25]
	v_add_f64 v[100:101], v[116:117], v[100:101]
	s_delay_alu instid0(VALU_DEP_4) | instskip(SKIP_1) | instid1(VALU_DEP_4)
	v_add_f64 v[108:109], v[110:111], v[108:109]
	v_fma_f64 v[110:111], v[168:169], s[10:11], v[233:234]
	v_fma_f64 v[130:131], v[144:145], s[10:11], -v[128:129]
	v_fma_f64 v[116:117], v[144:145], s[10:11], v[128:129]
	s_delay_alu instid0(VALU_DEP_4) | instskip(NEXT) | instid1(VALU_DEP_4)
	v_add_f64 v[108:109], v[112:113], v[108:109]
	v_add_f64 v[106:107], v[110:111], v[106:107]
	v_fma_f64 v[110:111], v[56:57], s[0:1], v[198:199]
	v_fma_f64 v[112:113], v[174:175], s[4:5], -v[217:218]
	v_add_f64 v[94:95], v[130:131], v[94:95]
	v_mul_f64 v[130:131], v[148:149], s[24:25]
	v_add_f64 v[98:99], v[116:117], v[98:99]
	v_add_f64 v[62:63], v[110:111], v[62:63]
	v_fma_f64 v[110:111], v[64:65], s[0:1], -v[200:201]
	s_delay_alu instid0(VALU_DEP_4) | instskip(SKIP_1) | instid1(VALU_DEP_3)
	v_fma_f64 v[136:137], v[150:151], s[10:11], v[130:131]
	v_fma_f64 v[116:117], v[150:151], s[10:11], -v[130:131]
	v_add_f64 v[60:61], v[110:111], v[60:61]
	v_fma_f64 v[110:111], v[132:133], s[8:9], v[202:203]
	s_delay_alu instid0(VALU_DEP_4)
	v_add_f64 v[96:97], v[136:137], v[96:97]
	v_mul_f64 v[136:137], v[154:155], s[16:17]
	v_add_f64 v[100:101], v[116:117], v[100:101]
	v_mul_f64 v[154:155], v[172:173], s[28:29]
	v_add_f64 v[62:63], v[110:111], v[62:63]
	v_fma_f64 v[110:111], v[138:139], s[8:9], -v[204:205]
	v_fma_f64 v[142:143], v[156:157], s[8:9], -v[136:137]
	v_fma_f64 v[116:117], v[156:157], s[8:9], v[136:137]
	v_fma_f64 v[122:123], v[174:175], s[12:13], -v[154:155]
	s_delay_alu instid0(VALU_DEP_4) | instskip(SKIP_4) | instid1(VALU_DEP_4)
	v_add_f64 v[60:61], v[110:111], v[60:61]
	v_fma_f64 v[110:111], v[144:145], s[14:15], v[206:207]
	v_add_f64 v[94:95], v[142:143], v[94:95]
	v_mul_f64 v[142:143], v[160:161], s[16:17]
	v_add_f64 v[98:99], v[116:117], v[98:99]
	v_add_f64 v[62:63], v[110:111], v[62:63]
	v_fma_f64 v[110:111], v[150:151], s[14:15], -v[208:209]
	s_delay_alu instid0(VALU_DEP_4) | instskip(SKIP_1) | instid1(VALU_DEP_3)
	v_fma_f64 v[148:149], v[162:163], s[8:9], v[142:143]
	v_fma_f64 v[116:117], v[162:163], s[8:9], -v[142:143]
	v_add_f64 v[60:61], v[110:111], v[60:61]
	v_fma_f64 v[110:111], v[156:157], s[10:11], v[211:212]
	s_delay_alu instid0(VALU_DEP_4) | instskip(SKIP_2) | instid1(VALU_DEP_4)
	v_add_f64 v[96:97], v[148:149], v[96:97]
	v_mul_f64 v[148:149], v[166:167], s[28:29]
	v_add_f64 v[100:101], v[116:117], v[100:101]
	v_add_f64 v[62:63], v[110:111], v[62:63]
	v_fma_f64 v[110:111], v[162:163], s[10:11], -v[213:214]
	s_delay_alu instid0(VALU_DEP_4) | instskip(SKIP_2) | instid1(VALU_DEP_4)
	v_fma_f64 v[160:161], v[168:169], s[12:13], -v[148:149]
	v_fma_f64 v[116:117], v[168:169], s[12:13], v[148:149]
	v_add_f64 v[100:101], v[122:123], v[100:101]
	v_add_f64 v[110:111], v[110:111], v[60:61]
	v_fma_f64 v[60:61], v[168:169], s[4:5], v[215:216]
	v_add_f64 v[94:95], v[160:161], v[94:95]
	v_fma_f64 v[160:161], v[174:175], s[12:13], v[154:155]
	v_add_f64 v[98:99], v[116:117], v[98:99]
	s_delay_alu instid0(VALU_DEP_4)
	v_add_f64 v[60:61], v[60:61], v[62:63]
	v_add_f64 v[62:63], v[112:113], v[110:111]
	v_fma_f64 v[110:111], v[56:57], s[8:9], v[178:179]
	v_fma_f64 v[56:57], v[56:57], s[10:11], -v[58:59]
	v_fma_f64 v[58:59], v[64:65], s[10:11], v[66:67]
	v_fma_f64 v[66:67], v[138:139], s[12:13], v[140:141]
	v_fma_f64 v[112:113], v[174:175], s[14:15], -v[196:197]
	v_add_f64 v[96:97], v[160:161], v[96:97]
	v_add_f64 v[54:55], v[110:111], v[54:55]
	v_fma_f64 v[110:111], v[64:65], s[8:9], -v[180:181]
	v_fma_f64 v[64:65], v[132:133], s[12:13], -v[134:135]
	v_add_f64 v[48:49], v[56:57], v[48:49]
	v_add_f64 v[50:51], v[58:59], v[50:51]
	v_fma_f64 v[56:57], v[144:145], s[8:9], -v[146:147]
	v_fma_f64 v[58:59], v[150:151], s[8:9], v[152:153]
	v_add_f64 v[52:53], v[110:111], v[52:53]
	v_fma_f64 v[110:111], v[132:133], s[0:1], v[182:183]
	v_add_f64 v[48:49], v[64:65], v[48:49]
	v_add_f64 v[50:51], v[66:67], v[50:51]
	v_fma_f64 v[64:65], v[156:157], s[4:5], -v[158:159]
	v_fma_f64 v[66:67], v[162:163], s[4:5], v[164:165]
	v_add_f64 v[54:55], v[110:111], v[54:55]
	v_fma_f64 v[110:111], v[138:139], s[0:1], -v[184:185]
	v_add_f64 v[48:49], v[56:57], v[48:49]
	v_add_f64 v[50:51], v[58:59], v[50:51]
	v_fma_f64 v[56:57], v[168:169], s[0:1], -v[170:171]
	v_fma_f64 v[58:59], v[174:175], s[0:1], v[176:177]
	v_add_f64 v[52:53], v[110:111], v[52:53]
	v_fma_f64 v[110:111], v[144:145], s[4:5], v[186:187]
	v_add_f64 v[48:49], v[64:65], v[48:49]
	v_add_f64 v[50:51], v[66:67], v[50:51]
	s_delay_alu instid0(VALU_DEP_3) | instskip(SKIP_1) | instid1(VALU_DEP_4)
	v_add_f64 v[54:55], v[110:111], v[54:55]
	v_fma_f64 v[110:111], v[150:151], s[4:5], -v[188:189]
	v_add_f64 v[48:49], v[56:57], v[48:49]
	s_delay_alu instid0(VALU_DEP_4) | instskip(NEXT) | instid1(VALU_DEP_3)
	v_add_f64 v[50:51], v[58:59], v[50:51]
	v_add_f64 v[52:53], v[110:111], v[52:53]
	v_fma_f64 v[110:111], v[156:157], s[12:13], v[190:191]
	s_delay_alu instid0(VALU_DEP_1) | instskip(SKIP_1) | instid1(VALU_DEP_1)
	v_add_f64 v[54:55], v[110:111], v[54:55]
	v_fma_f64 v[110:111], v[162:163], s[12:13], -v[192:193]
	v_add_f64 v[110:111], v[110:111], v[52:53]
	v_fma_f64 v[52:53], v[168:169], s[14:15], v[194:195]
	s_delay_alu instid0(VALU_DEP_1) | instskip(NEXT) | instid1(VALU_DEP_3)
	v_add_f64 v[52:53], v[52:53], v[54:55]
	v_add_f64 v[54:55], v[112:113], v[110:111]
	ds_store_b128 v79, v[72:75] offset:1088
	ds_store_b128 v79, v[82:85] offset:1632
	ds_store_b128 v79, v[86:89] offset:2176
	ds_store_b128 v79, v[90:93] offset:2720
	ds_store_b128 v79, v[94:97] offset:3264
	ds_store_b128 v79, v[98:101] offset:3808
	ds_store_b128 v79, v[102:105] offset:4352
	ds_store_b128 v79, v[106:109] offset:4896
	ds_store_b128 v79, v[60:63] offset:5440
	ds_store_b128 v79, v[52:55] offset:5984
	ds_store_b128 v79, v[68:71] offset:6528
	ds_store_b128 v79, v[48:51] offset:544
	ds_store_b128 v79, v[2:5]
	s_waitcnt lgkmcnt(0)
	s_barrier
	buffer_gl0_inv
	s_and_saveexec_b32 s0, vcc_lo
	s_cbranch_execz .LBB0_28
; %bb.27:
	v_mul_lo_u32 v2, s3, v80
	v_mul_lo_u32 v3, s2, v81
	v_mad_u64_u32 v[0:1], null, s2, v80, 0
	v_dual_mov_b32 v79, 0 :: v_dual_add_nc_u32 v10, 34, v78
	v_lshlrev_b64 v[8:9], 4, v[76:77]
	v_lshl_add_u32 v28, v78, 4, v210
	s_delay_alu instid0(VALU_DEP_3) | instskip(SKIP_4) | instid1(VALU_DEP_4)
	v_dual_mov_b32 v11, v79 :: v_dual_add_nc_u32 v12, 0x44, v78
	v_add3_u32 v1, v1, v3, v2
	v_lshlrev_b64 v[14:15], 4, v[78:79]
	v_dual_mov_b32 v13, v79 :: v_dual_add_nc_u32 v22, 0x66, v78
	v_dual_mov_b32 v23, v79 :: v_dual_add_nc_u32 v24, 0x88, v78
	v_lshlrev_b64 v[16:17], 4, v[0:1]
	ds_load_b128 v[0:3], v28
	ds_load_b128 v[4:7], v28 offset:544
	v_mov_b32_e32 v25, v79
	v_lshlrev_b64 v[22:23], 4, v[22:23]
	v_add_co_u32 v18, vcc_lo, s6, v16
	v_add_co_ci_u32_e32 v19, vcc_lo, s7, v17, vcc_lo
	v_lshlrev_b64 v[16:17], 4, v[10:11]
	s_delay_alu instid0(VALU_DEP_3) | instskip(NEXT) | instid1(VALU_DEP_3)
	v_add_co_u32 v30, vcc_lo, v18, v8
	v_add_co_ci_u32_e32 v31, vcc_lo, v19, v9, vcc_lo
	v_lshlrev_b64 v[18:19], 4, v[12:13]
	s_delay_alu instid0(VALU_DEP_3) | instskip(NEXT) | instid1(VALU_DEP_3)
	v_add_co_u32 v20, vcc_lo, v30, v14
	v_add_co_ci_u32_e32 v21, vcc_lo, v31, v15, vcc_lo
	ds_load_b128 v[8:11], v28 offset:1088
	ds_load_b128 v[12:15], v28 offset:1632
	v_add_co_u32 v16, vcc_lo, v30, v16
	v_add_co_ci_u32_e32 v17, vcc_lo, v31, v17, vcc_lo
	v_add_co_u32 v18, vcc_lo, v30, v18
	v_add_co_ci_u32_e32 v19, vcc_lo, v31, v19, vcc_lo
	;; [unrolled: 2-line block ×3, first 2 shown]
	s_waitcnt lgkmcnt(3)
	global_store_b128 v[20:21], v[0:3], off
	s_waitcnt lgkmcnt(2)
	global_store_b128 v[16:17], v[4:7], off
	;; [unrolled: 2-line block ×4, first 2 shown]
	v_add_nc_u32_e32 v8, 0xaa, v78
	v_lshlrev_b64 v[0:1], 4, v[24:25]
	v_dual_mov_b32 v9, v79 :: v_dual_add_nc_u32 v10, 0xcc, v78
	v_dual_mov_b32 v11, v79 :: v_dual_add_nc_u32 v22, 0xee, v78
	;; [unrolled: 1-line block ×3, first 2 shown]
	s_delay_alu instid0(VALU_DEP_4)
	v_add_co_u32 v16, vcc_lo, v30, v0
	v_add_co_ci_u32_e32 v17, vcc_lo, v31, v1, vcc_lo
	ds_load_b128 v[0:3], v28 offset:2176
	ds_load_b128 v[4:7], v28 offset:2720
	v_lshlrev_b64 v[18:19], 4, v[8:9]
	v_lshlrev_b64 v[20:21], 4, v[10:11]
	ds_load_b128 v[8:11], v28 offset:3264
	ds_load_b128 v[12:15], v28 offset:3808
	v_lshlrev_b64 v[22:23], 4, v[22:23]
	v_add_co_u32 v18, vcc_lo, v30, v18
	v_add_co_ci_u32_e32 v19, vcc_lo, v31, v19, vcc_lo
	v_add_co_u32 v20, vcc_lo, v30, v20
	v_add_co_ci_u32_e32 v21, vcc_lo, v31, v21, vcc_lo
	v_add_co_u32 v22, vcc_lo, v30, v22
	s_waitcnt lgkmcnt(3)
	global_store_b128 v[16:17], v[0:3], off
	s_waitcnt lgkmcnt(2)
	global_store_b128 v[18:19], v[4:7], off
	v_dual_mov_b32 v3, v79 :: v_dual_add_nc_u32 v2, 0x132, v78
	v_add_co_ci_u32_e32 v23, vcc_lo, v31, v23, vcc_lo
	v_lshlrev_b64 v[0:1], 4, v[24:25]
	s_waitcnt lgkmcnt(1)
	global_store_b128 v[20:21], v[8:11], off
	s_waitcnt lgkmcnt(0)
	global_store_b128 v[22:23], v[12:15], off
	v_lshlrev_b64 v[8:9], 4, v[2:3]
	v_dual_mov_b32 v11, v79 :: v_dual_add_nc_u32 v10, 0x154, v78
	v_add_co_u32 v20, vcc_lo, v30, v0
	v_add_co_ci_u32_e32 v21, vcc_lo, v31, v1, vcc_lo
	s_delay_alu instid0(VALU_DEP_4)
	v_add_co_u32 v22, vcc_lo, v30, v8
	ds_load_b128 v[0:3], v28 offset:4352
	ds_load_b128 v[4:7], v28 offset:4896
	v_add_co_ci_u32_e32 v23, vcc_lo, v31, v9, vcc_lo
	v_lshlrev_b64 v[26:27], 4, v[10:11]
	ds_load_b128 v[8:11], v28 offset:5440
	ds_load_b128 v[12:15], v28 offset:5984
	;; [unrolled: 1-line block ×3, first 2 shown]
	v_add_nc_u32_e32 v24, 0x176, v78
	v_add_nc_u32_e32 v78, 0x198, v78
	v_add_co_u32 v26, vcc_lo, v30, v26
	s_delay_alu instid0(VALU_DEP_3) | instskip(NEXT) | instid1(VALU_DEP_3)
	v_lshlrev_b64 v[24:25], 4, v[24:25]
	v_lshlrev_b64 v[28:29], 4, v[78:79]
	v_add_co_ci_u32_e32 v27, vcc_lo, v31, v27, vcc_lo
	s_delay_alu instid0(VALU_DEP_3) | instskip(NEXT) | instid1(VALU_DEP_4)
	v_add_co_u32 v24, vcc_lo, v30, v24
	v_add_co_ci_u32_e32 v25, vcc_lo, v31, v25, vcc_lo
	s_delay_alu instid0(VALU_DEP_4)
	v_add_co_u32 v28, vcc_lo, v30, v28
	v_add_co_ci_u32_e32 v29, vcc_lo, v31, v29, vcc_lo
	s_waitcnt lgkmcnt(4)
	global_store_b128 v[20:21], v[0:3], off
	s_waitcnt lgkmcnt(3)
	global_store_b128 v[22:23], v[4:7], off
	;; [unrolled: 2-line block ×5, first 2 shown]
.LBB0_28:
	s_nop 0
	s_sendmsg sendmsg(MSG_DEALLOC_VGPRS)
	s_endpgm
	.section	.rodata,"a",@progbits
	.p2align	6, 0x0
	.amdhsa_kernel fft_rtc_fwd_len442_factors_17_2_13_wgs_238_tpt_34_halfLds_dp_op_CI_CI_unitstride_sbrr_C2R_dirReg
		.amdhsa_group_segment_fixed_size 0
		.amdhsa_private_segment_fixed_size 20
		.amdhsa_kernarg_size 104
		.amdhsa_user_sgpr_count 15
		.amdhsa_user_sgpr_dispatch_ptr 0
		.amdhsa_user_sgpr_queue_ptr 0
		.amdhsa_user_sgpr_kernarg_segment_ptr 1
		.amdhsa_user_sgpr_dispatch_id 0
		.amdhsa_user_sgpr_private_segment_size 0
		.amdhsa_wavefront_size32 1
		.amdhsa_uses_dynamic_stack 0
		.amdhsa_enable_private_segment 1
		.amdhsa_system_sgpr_workgroup_id_x 1
		.amdhsa_system_sgpr_workgroup_id_y 0
		.amdhsa_system_sgpr_workgroup_id_z 0
		.amdhsa_system_sgpr_workgroup_info 0
		.amdhsa_system_vgpr_workitem_id 0
		.amdhsa_next_free_vgpr 255
		.amdhsa_next_free_sgpr 58
		.amdhsa_reserve_vcc 1
		.amdhsa_float_round_mode_32 0
		.amdhsa_float_round_mode_16_64 0
		.amdhsa_float_denorm_mode_32 3
		.amdhsa_float_denorm_mode_16_64 3
		.amdhsa_dx10_clamp 1
		.amdhsa_ieee_mode 1
		.amdhsa_fp16_overflow 0
		.amdhsa_workgroup_processor_mode 1
		.amdhsa_memory_ordered 1
		.amdhsa_forward_progress 0
		.amdhsa_shared_vgpr_count 0
		.amdhsa_exception_fp_ieee_invalid_op 0
		.amdhsa_exception_fp_denorm_src 0
		.amdhsa_exception_fp_ieee_div_zero 0
		.amdhsa_exception_fp_ieee_overflow 0
		.amdhsa_exception_fp_ieee_underflow 0
		.amdhsa_exception_fp_ieee_inexact 0
		.amdhsa_exception_int_div_zero 0
	.end_amdhsa_kernel
	.text
.Lfunc_end0:
	.size	fft_rtc_fwd_len442_factors_17_2_13_wgs_238_tpt_34_halfLds_dp_op_CI_CI_unitstride_sbrr_C2R_dirReg, .Lfunc_end0-fft_rtc_fwd_len442_factors_17_2_13_wgs_238_tpt_34_halfLds_dp_op_CI_CI_unitstride_sbrr_C2R_dirReg
                                        ; -- End function
	.section	.AMDGPU.csdata,"",@progbits
; Kernel info:
; codeLenInByte = 17252
; NumSgprs: 60
; NumVgprs: 255
; ScratchSize: 20
; MemoryBound: 0
; FloatMode: 240
; IeeeMode: 1
; LDSByteSize: 0 bytes/workgroup (compile time only)
; SGPRBlocks: 7
; VGPRBlocks: 31
; NumSGPRsForWavesPerEU: 60
; NumVGPRsForWavesPerEU: 255
; Occupancy: 5
; WaveLimiterHint : 1
; COMPUTE_PGM_RSRC2:SCRATCH_EN: 1
; COMPUTE_PGM_RSRC2:USER_SGPR: 15
; COMPUTE_PGM_RSRC2:TRAP_HANDLER: 0
; COMPUTE_PGM_RSRC2:TGID_X_EN: 1
; COMPUTE_PGM_RSRC2:TGID_Y_EN: 0
; COMPUTE_PGM_RSRC2:TGID_Z_EN: 0
; COMPUTE_PGM_RSRC2:TIDIG_COMP_CNT: 0
	.text
	.p2alignl 7, 3214868480
	.fill 96, 4, 3214868480
	.type	__hip_cuid_86d89f1d8e3e8b1c,@object ; @__hip_cuid_86d89f1d8e3e8b1c
	.section	.bss,"aw",@nobits
	.globl	__hip_cuid_86d89f1d8e3e8b1c
__hip_cuid_86d89f1d8e3e8b1c:
	.byte	0                               ; 0x0
	.size	__hip_cuid_86d89f1d8e3e8b1c, 1

	.ident	"AMD clang version 19.0.0git (https://github.com/RadeonOpenCompute/llvm-project roc-6.4.0 25133 c7fe45cf4b819c5991fe208aaa96edf142730f1d)"
	.section	".note.GNU-stack","",@progbits
	.addrsig
	.addrsig_sym __hip_cuid_86d89f1d8e3e8b1c
	.amdgpu_metadata
---
amdhsa.kernels:
  - .args:
      - .actual_access:  read_only
        .address_space:  global
        .offset:         0
        .size:           8
        .value_kind:     global_buffer
      - .offset:         8
        .size:           8
        .value_kind:     by_value
      - .actual_access:  read_only
        .address_space:  global
        .offset:         16
        .size:           8
        .value_kind:     global_buffer
      - .actual_access:  read_only
        .address_space:  global
        .offset:         24
        .size:           8
        .value_kind:     global_buffer
      - .actual_access:  read_only
        .address_space:  global
        .offset:         32
        .size:           8
        .value_kind:     global_buffer
      - .offset:         40
        .size:           8
        .value_kind:     by_value
      - .actual_access:  read_only
        .address_space:  global
        .offset:         48
        .size:           8
        .value_kind:     global_buffer
      - .actual_access:  read_only
        .address_space:  global
        .offset:         56
        .size:           8
        .value_kind:     global_buffer
      - .offset:         64
        .size:           4
        .value_kind:     by_value
      - .actual_access:  read_only
        .address_space:  global
        .offset:         72
        .size:           8
        .value_kind:     global_buffer
      - .actual_access:  read_only
        .address_space:  global
        .offset:         80
        .size:           8
        .value_kind:     global_buffer
      - .actual_access:  read_only
        .address_space:  global
        .offset:         88
        .size:           8
        .value_kind:     global_buffer
      - .actual_access:  write_only
        .address_space:  global
        .offset:         96
        .size:           8
        .value_kind:     global_buffer
    .group_segment_fixed_size: 0
    .kernarg_segment_align: 8
    .kernarg_segment_size: 104
    .language:       OpenCL C
    .language_version:
      - 2
      - 0
    .max_flat_workgroup_size: 238
    .name:           fft_rtc_fwd_len442_factors_17_2_13_wgs_238_tpt_34_halfLds_dp_op_CI_CI_unitstride_sbrr_C2R_dirReg
    .private_segment_fixed_size: 20
    .sgpr_count:     60
    .sgpr_spill_count: 0
    .symbol:         fft_rtc_fwd_len442_factors_17_2_13_wgs_238_tpt_34_halfLds_dp_op_CI_CI_unitstride_sbrr_C2R_dirReg.kd
    .uniform_work_group_size: 1
    .uses_dynamic_stack: false
    .vgpr_count:     255
    .vgpr_spill_count: 4
    .wavefront_size: 32
    .workgroup_processor_mode: 1
amdhsa.target:   amdgcn-amd-amdhsa--gfx1100
amdhsa.version:
  - 1
  - 2
...

	.end_amdgpu_metadata
